;; amdgpu-corpus repo=ROCm/rocFFT kind=compiled arch=gfx906 opt=O3
	.text
	.amdgcn_target "amdgcn-amd-amdhsa--gfx906"
	.amdhsa_code_object_version 6
	.protected	fft_rtc_back_len480_factors_10_8_6_wgs_64_tpt_16_halfLds_half_ip_CI_unitstride_sbrr_R2C_dirReg ; -- Begin function fft_rtc_back_len480_factors_10_8_6_wgs_64_tpt_16_halfLds_half_ip_CI_unitstride_sbrr_R2C_dirReg
	.globl	fft_rtc_back_len480_factors_10_8_6_wgs_64_tpt_16_halfLds_half_ip_CI_unitstride_sbrr_R2C_dirReg
	.p2align	8
	.type	fft_rtc_back_len480_factors_10_8_6_wgs_64_tpt_16_halfLds_half_ip_CI_unitstride_sbrr_R2C_dirReg,@function
fft_rtc_back_len480_factors_10_8_6_wgs_64_tpt_16_halfLds_half_ip_CI_unitstride_sbrr_R2C_dirReg: ; @fft_rtc_back_len480_factors_10_8_6_wgs_64_tpt_16_halfLds_half_ip_CI_unitstride_sbrr_R2C_dirReg
; %bb.0:
	s_load_dwordx2 s[12:13], s[4:5], 0x50
	s_load_dwordx4 s[8:11], s[4:5], 0x0
	s_load_dwordx2 s[2:3], s[4:5], 0x18
	v_lshrrev_b32_e32 v9, 4, v0
	v_mov_b32_e32 v3, 0
	v_mov_b32_e32 v1, 0
	s_waitcnt lgkmcnt(0)
	v_cmp_lt_u64_e64 s[0:1], s[10:11], 2
	v_lshl_or_b32 v5, s6, 2, v9
	v_mov_b32_e32 v6, v3
	s_and_b64 vcc, exec, s[0:1]
	v_mov_b32_e32 v2, 0
	s_cbranch_vccnz .LBB0_8
; %bb.1:
	s_load_dwordx2 s[0:1], s[4:5], 0x10
	s_add_u32 s6, s2, 8
	s_addc_u32 s7, s3, 0
	v_mov_b32_e32 v1, 0
	v_mov_b32_e32 v2, 0
	s_waitcnt lgkmcnt(0)
	s_add_u32 s14, s0, 8
	s_addc_u32 s15, s1, 0
	s_mov_b64 s[16:17], 1
.LBB0_2:                                ; =>This Inner Loop Header: Depth=1
	s_load_dwordx2 s[18:19], s[14:15], 0x0
                                        ; implicit-def: $vgpr7_vgpr8
	s_waitcnt lgkmcnt(0)
	v_or_b32_e32 v4, s19, v6
	v_cmp_ne_u64_e32 vcc, 0, v[3:4]
	s_and_saveexec_b64 s[0:1], vcc
	s_xor_b64 s[20:21], exec, s[0:1]
	s_cbranch_execz .LBB0_4
; %bb.3:                                ;   in Loop: Header=BB0_2 Depth=1
	v_cvt_f32_u32_e32 v4, s18
	v_cvt_f32_u32_e32 v7, s19
	s_sub_u32 s0, 0, s18
	s_subb_u32 s1, 0, s19
	v_mac_f32_e32 v4, 0x4f800000, v7
	v_rcp_f32_e32 v4, v4
	v_mul_f32_e32 v4, 0x5f7ffffc, v4
	v_mul_f32_e32 v7, 0x2f800000, v4
	v_trunc_f32_e32 v7, v7
	v_mac_f32_e32 v4, 0xcf800000, v7
	v_cvt_u32_f32_e32 v7, v7
	v_cvt_u32_f32_e32 v4, v4
	v_mul_lo_u32 v8, s0, v7
	v_mul_hi_u32 v10, s0, v4
	v_mul_lo_u32 v12, s1, v4
	v_mul_lo_u32 v11, s0, v4
	v_add_u32_e32 v8, v10, v8
	v_add_u32_e32 v8, v8, v12
	v_mul_hi_u32 v10, v4, v11
	v_mul_lo_u32 v12, v4, v8
	v_mul_hi_u32 v14, v4, v8
	v_mul_hi_u32 v13, v7, v11
	v_mul_lo_u32 v11, v7, v11
	v_mul_hi_u32 v15, v7, v8
	v_add_co_u32_e32 v10, vcc, v10, v12
	v_addc_co_u32_e32 v12, vcc, 0, v14, vcc
	v_mul_lo_u32 v8, v7, v8
	v_add_co_u32_e32 v10, vcc, v10, v11
	v_addc_co_u32_e32 v10, vcc, v12, v13, vcc
	v_addc_co_u32_e32 v11, vcc, 0, v15, vcc
	v_add_co_u32_e32 v8, vcc, v10, v8
	v_addc_co_u32_e32 v10, vcc, 0, v11, vcc
	v_add_co_u32_e32 v4, vcc, v4, v8
	v_addc_co_u32_e32 v7, vcc, v7, v10, vcc
	v_mul_lo_u32 v8, s0, v7
	v_mul_hi_u32 v10, s0, v4
	v_mul_lo_u32 v11, s1, v4
	v_mul_lo_u32 v12, s0, v4
	v_add_u32_e32 v8, v10, v8
	v_add_u32_e32 v8, v8, v11
	v_mul_lo_u32 v13, v4, v8
	v_mul_hi_u32 v14, v4, v12
	v_mul_hi_u32 v15, v4, v8
	;; [unrolled: 1-line block ×3, first 2 shown]
	v_mul_lo_u32 v12, v7, v12
	v_mul_hi_u32 v10, v7, v8
	v_add_co_u32_e32 v13, vcc, v14, v13
	v_addc_co_u32_e32 v14, vcc, 0, v15, vcc
	v_mul_lo_u32 v8, v7, v8
	v_add_co_u32_e32 v12, vcc, v13, v12
	v_addc_co_u32_e32 v11, vcc, v14, v11, vcc
	v_addc_co_u32_e32 v10, vcc, 0, v10, vcc
	v_add_co_u32_e32 v8, vcc, v11, v8
	v_addc_co_u32_e32 v10, vcc, 0, v10, vcc
	v_add_co_u32_e32 v4, vcc, v4, v8
	v_addc_co_u32_e32 v10, vcc, v7, v10, vcc
	v_mad_u64_u32 v[7:8], s[0:1], v5, v10, 0
	v_mul_hi_u32 v11, v5, v4
	v_add_co_u32_e32 v12, vcc, v11, v7
	v_addc_co_u32_e32 v13, vcc, 0, v8, vcc
	v_mad_u64_u32 v[7:8], s[0:1], v6, v4, 0
	v_mad_u64_u32 v[10:11], s[0:1], v6, v10, 0
	v_add_co_u32_e32 v4, vcc, v12, v7
	v_addc_co_u32_e32 v4, vcc, v13, v8, vcc
	v_addc_co_u32_e32 v7, vcc, 0, v11, vcc
	v_add_co_u32_e32 v4, vcc, v4, v10
	v_addc_co_u32_e32 v10, vcc, 0, v7, vcc
	v_mul_lo_u32 v11, s19, v4
	v_mul_lo_u32 v12, s18, v10
	v_mad_u64_u32 v[7:8], s[0:1], s18, v4, 0
	v_add3_u32 v8, v8, v12, v11
	v_sub_u32_e32 v11, v6, v8
	v_mov_b32_e32 v12, s19
	v_sub_co_u32_e32 v7, vcc, v5, v7
	v_subb_co_u32_e64 v11, s[0:1], v11, v12, vcc
	v_subrev_co_u32_e64 v12, s[0:1], s18, v7
	v_subbrev_co_u32_e64 v11, s[0:1], 0, v11, s[0:1]
	v_cmp_le_u32_e64 s[0:1], s19, v11
	v_cndmask_b32_e64 v13, 0, -1, s[0:1]
	v_cmp_le_u32_e64 s[0:1], s18, v12
	v_cndmask_b32_e64 v12, 0, -1, s[0:1]
	v_cmp_eq_u32_e64 s[0:1], s19, v11
	v_cndmask_b32_e64 v11, v13, v12, s[0:1]
	v_add_co_u32_e64 v12, s[0:1], 2, v4
	v_addc_co_u32_e64 v13, s[0:1], 0, v10, s[0:1]
	v_add_co_u32_e64 v14, s[0:1], 1, v4
	v_addc_co_u32_e64 v15, s[0:1], 0, v10, s[0:1]
	v_subb_co_u32_e32 v8, vcc, v6, v8, vcc
	v_cmp_ne_u32_e64 s[0:1], 0, v11
	v_cmp_le_u32_e32 vcc, s19, v8
	v_cndmask_b32_e64 v11, v15, v13, s[0:1]
	v_cndmask_b32_e64 v13, 0, -1, vcc
	v_cmp_le_u32_e32 vcc, s18, v7
	v_cndmask_b32_e64 v7, 0, -1, vcc
	v_cmp_eq_u32_e32 vcc, s19, v8
	v_cndmask_b32_e32 v7, v13, v7, vcc
	v_cmp_ne_u32_e32 vcc, 0, v7
	v_cndmask_b32_e64 v7, v14, v12, s[0:1]
	v_cndmask_b32_e32 v8, v10, v11, vcc
	v_cndmask_b32_e32 v7, v4, v7, vcc
.LBB0_4:                                ;   in Loop: Header=BB0_2 Depth=1
	s_andn2_saveexec_b64 s[0:1], s[20:21]
	s_cbranch_execz .LBB0_6
; %bb.5:                                ;   in Loop: Header=BB0_2 Depth=1
	v_cvt_f32_u32_e32 v4, s18
	s_sub_i32 s20, 0, s18
	v_rcp_iflag_f32_e32 v4, v4
	v_mul_f32_e32 v4, 0x4f7ffffe, v4
	v_cvt_u32_f32_e32 v4, v4
	v_mul_lo_u32 v7, s20, v4
	v_mul_hi_u32 v7, v4, v7
	v_add_u32_e32 v4, v4, v7
	v_mul_hi_u32 v4, v5, v4
	v_mul_lo_u32 v7, v4, s18
	v_add_u32_e32 v8, 1, v4
	v_sub_u32_e32 v7, v5, v7
	v_subrev_u32_e32 v10, s18, v7
	v_cmp_le_u32_e32 vcc, s18, v7
	v_cndmask_b32_e32 v7, v7, v10, vcc
	v_cndmask_b32_e32 v4, v4, v8, vcc
	v_add_u32_e32 v8, 1, v4
	v_cmp_le_u32_e32 vcc, s18, v7
	v_cndmask_b32_e32 v7, v4, v8, vcc
	v_mov_b32_e32 v8, v3
.LBB0_6:                                ;   in Loop: Header=BB0_2 Depth=1
	s_or_b64 exec, exec, s[0:1]
	v_mul_lo_u32 v4, v8, s18
	v_mul_lo_u32 v12, v7, s19
	v_mad_u64_u32 v[10:11], s[0:1], v7, s18, 0
	s_load_dwordx2 s[0:1], s[6:7], 0x0
	s_add_u32 s16, s16, 1
	v_add3_u32 v4, v11, v12, v4
	v_sub_co_u32_e32 v5, vcc, v5, v10
	v_subb_co_u32_e32 v4, vcc, v6, v4, vcc
	s_waitcnt lgkmcnt(0)
	v_mul_lo_u32 v4, s0, v4
	v_mul_lo_u32 v6, s1, v5
	v_mad_u64_u32 v[1:2], s[0:1], s0, v5, v[1:2]
	s_addc_u32 s17, s17, 0
	s_add_u32 s6, s6, 8
	v_add3_u32 v2, v6, v2, v4
	v_mov_b32_e32 v4, s10
	v_mov_b32_e32 v5, s11
	s_addc_u32 s7, s7, 0
	v_cmp_ge_u64_e32 vcc, s[16:17], v[4:5]
	s_add_u32 s14, s14, 8
	s_addc_u32 s15, s15, 0
	s_cbranch_vccnz .LBB0_9
; %bb.7:                                ;   in Loop: Header=BB0_2 Depth=1
	v_mov_b32_e32 v5, v7
	v_mov_b32_e32 v6, v8
	s_branch .LBB0_2
.LBB0_8:
	v_mov_b32_e32 v8, v6
	v_mov_b32_e32 v7, v5
.LBB0_9:
	s_lshl_b64 s[0:1], s[10:11], 3
	s_add_u32 s0, s2, s0
	s_addc_u32 s1, s3, s1
	s_load_dwordx2 s[2:3], s[0:1], 0x0
	s_load_dwordx2 s[6:7], s[4:5], 0x20
	v_and_b32_e32 v0, 15, v0
	v_or_b32_e32 v5, 16, v0
	s_waitcnt lgkmcnt(0)
	v_mul_lo_u32 v3, s2, v8
	v_mul_lo_u32 v4, s3, v7
	v_mad_u64_u32 v[1:2], s[0:1], s2, v7, v[1:2]
	v_cmp_gt_u64_e32 vcc, s[6:7], v[7:8]
	v_cmp_le_u64_e64 s[0:1], s[6:7], v[7:8]
	v_add3_u32 v2, v4, v2, v3
	v_or_b32_e32 v7, 32, v0
	v_or_b32_e32 v4, 48, v0
	s_and_saveexec_b64 s[2:3], s[0:1]
	s_xor_b64 s[0:1], exec, s[2:3]
; %bb.10:
	v_or_b32_e32 v5, 16, v0
	v_or_b32_e32 v7, 32, v0
	;; [unrolled: 1-line block ×3, first 2 shown]
; %bb.11:
	s_or_saveexec_b64 s[2:3], s[0:1]
	v_mul_u32_u24_e32 v6, 0x1e1, v9
	v_lshlrev_b64 v[2:3], 2, v[1:2]
	v_lshlrev_b32_e32 v1, 2, v0
	v_lshlrev_b32_e32 v38, 2, v6
	s_xor_b64 exec, exec, s[2:3]
	s_cbranch_execz .LBB0_13
; %bb.12:
	v_mov_b32_e32 v6, s13
	v_add_co_u32_e64 v8, s[0:1], s12, v2
	v_addc_co_u32_e64 v6, s[0:1], v6, v3, s[0:1]
	v_add_co_u32_e64 v8, s[0:1], v8, v1
	v_addc_co_u32_e64 v9, s[0:1], 0, v6, s[0:1]
	global_load_dword v6, v[8:9], off
	global_load_dword v10, v[8:9], off offset:64
	global_load_dword v11, v[8:9], off offset:128
	;; [unrolled: 1-line block ×29, first 2 shown]
	v_add3_u32 v8, 0, v38, v1
	v_add_u32_e32 v9, 0x400, v8
	s_waitcnt vmcnt(28)
	ds_write2_b32 v8, v6, v10 offset1:16
	s_waitcnt vmcnt(26)
	ds_write2_b32 v8, v11, v12 offset0:32 offset1:48
	s_waitcnt vmcnt(24)
	ds_write2_b32 v8, v13, v14 offset0:64 offset1:80
	;; [unrolled: 2-line block ×7, first 2 shown]
	s_waitcnt vmcnt(12)
	ds_write2_b32 v9, v25, v26 offset1:16
	s_waitcnt vmcnt(10)
	ds_write2_b32 v9, v27, v28 offset0:32 offset1:48
	s_waitcnt vmcnt(8)
	ds_write2_b32 v9, v29, v30 offset0:64 offset1:80
	;; [unrolled: 2-line block ×6, first 2 shown]
.LBB0_13:
	s_or_b64 exec, exec, s[2:3]
	v_add_u32_e32 v6, 0, v1
	v_add_u32_e32 v6, v6, v38
	;; [unrolled: 1-line block ×3, first 2 shown]
	s_waitcnt lgkmcnt(0)
	; wave barrier
	s_waitcnt lgkmcnt(0)
	ds_read2_b32 v[8:9], v6 offset0:80 offset1:96
	ds_read2_b32 v[12:13], v41 offset0:16 offset1:32
	;; [unrolled: 1-line block ×4, first 2 shown]
	v_add_u32_e32 v43, 0x200, v6
	s_movk_i32 s4, 0x3b9c
	v_add_u32_e32 v37, 0, v38
	s_waitcnt lgkmcnt(1)
	v_sub_f16_e32 v16, v11, v13
	s_waitcnt lgkmcnt(0)
	v_sub_f16_e32 v17, v9, v15
	v_add_f16_e32 v39, v17, v16
	ds_read2_b32 v[16:17], v41 offset0:80 offset1:96
	ds_read2_b32 v[18:19], v41 offset0:176 offset1:192
	;; [unrolled: 1-line block ×4, first 2 shown]
	v_sub_f16_sdwa v24, v9, v15 dst_sel:DWORD dst_unused:UNUSED_PAD src0_sel:WORD_1 src1_sel:WORD_1
	v_sub_f16_sdwa v25, v11, v13 dst_sel:DWORD dst_unused:UNUSED_PAD src0_sel:WORD_1 src1_sel:WORD_1
	v_add_f16_e32 v40, v24, v25
	s_waitcnt lgkmcnt(2)
	v_sub_f16_e32 v24, v18, v16
	s_waitcnt lgkmcnt(0)
	v_sub_f16_e32 v25, v20, v22
	v_add_f16_e32 v42, v25, v24
	v_sub_f16_sdwa v24, v20, v22 dst_sel:DWORD dst_unused:UNUSED_PAD src0_sel:WORD_1 src1_sel:WORD_1
	v_sub_f16_sdwa v25, v18, v16 dst_sel:DWORD dst_unused:UNUSED_PAD src0_sel:WORD_1 src1_sel:WORD_1
	v_add_f16_e32 v44, v24, v25
	ds_read2_b32 v[24:25], v6 offset0:48 offset1:64
	v_add_f16_sdwa v27, v22, v16 dst_sel:DWORD dst_unused:UNUSED_PAD src0_sel:WORD_1 src1_sel:WORD_1
	v_add_f16_e32 v26, v22, v16
	v_sub_f16_e32 v50, v20, v18
	s_mov_b32 s0, 0xbb9c
	s_waitcnt lgkmcnt(0)
	v_lshrrev_b32_e32 v48, 16, v24
	v_fma_f16 v49, v27, -0.5, v48
	s_movk_i32 s3, 0x38b4
	v_fma_f16 v45, v26, -0.5, v24
	v_sub_f16_sdwa v46, v20, v18 dst_sel:DWORD dst_unused:UNUSED_PAD src0_sel:WORD_1 src1_sel:WORD_1
	v_fma_f16 v27, v50, s4, v49
	v_sub_f16_e32 v51, v22, v16
	v_add_u32_e32 v36, v37, v1
	s_mov_b32 s1, 0xb8b4
	s_movk_i32 s2, 0x34f2
	v_fma_f16 v26, v46, s0, v45
	v_sub_f16_sdwa v47, v22, v16 dst_sel:DWORD dst_unused:UNUSED_PAD src0_sel:WORD_1 src1_sel:WORD_1
	v_fma_f16 v27, v51, s3, v27
	ds_read_b32 v53, v36
	ds_read_b32 v55, v6 offset:1856
	v_fma_f16 v26, v47, s1, v26
	v_fma_f16 v27, v44, s2, v27
	s_movk_i32 s5, 0x3a79
	v_fma_f16 v26, v42, s2, v26
	v_mul_f16_e32 v28, 0xb8b4, v27
	v_fma_f16 v52, v26, s5, v28
	v_mul_f16_e32 v26, 0x38b4, v26
	v_fma_f16 v54, v27, s5, v26
	v_add_f16_e32 v26, v15, v13
	s_waitcnt lgkmcnt(1)
	v_fma_f16 v56, v26, -0.5, v53
	v_sub_f16_sdwa v57, v9, v11 dst_sel:DWORD dst_unused:UNUSED_PAD src0_sel:WORD_1 src1_sel:WORD_1
	v_fma_f16 v26, v57, s0, v56
	v_sub_f16_sdwa v58, v15, v13 dst_sel:DWORD dst_unused:UNUSED_PAD src0_sel:WORD_1 src1_sel:WORD_1
	v_fma_f16 v26, v58, s1, v26
	v_fma_f16 v59, v39, s2, v26
	v_add_f16_sdwa v26, v15, v13 dst_sel:DWORD dst_unused:UNUSED_PAD src0_sel:WORD_1 src1_sel:WORD_1
	v_lshrrev_b32_e32 v60, 16, v53
	v_fma_f16 v61, v26, -0.5, v60
	v_sub_f16_e32 v62, v9, v11
	v_fma_f16 v26, v62, s4, v61
	v_sub_f16_e32 v63, v15, v13
	v_fma_f16 v26, v63, s3, v26
	v_fma_f16 v64, v40, s2, v26
	v_add_f16_e32 v26, v59, v52
	v_add_f16_e32 v27, v64, v54
	v_pack_b32_f16 v65, v26, v27
	v_mul_u32_u24_e32 v26, 10, v0
	v_lshl_add_u32 v66, v26, 2, v37
	v_pk_add_f16 v26, v53, v9
	v_pk_add_f16 v26, v26, v15
	;; [unrolled: 1-line block ×9, first 2 shown]
	ds_read2_b32 v[26:27], v6 offset0:16 offset1:32
	ds_read2_b32 v[28:29], v6 offset0:112 offset1:128
	;; [unrolled: 1-line block ×5, first 2 shown]
	s_waitcnt lgkmcnt(0)
	; wave barrier
	s_waitcnt lgkmcnt(0)
	ds_write2_b32 v66, v69, v65 offset1:1
	v_add_f16_e32 v65, v9, v11
	v_fma_f16 v53, v65, -0.5, v53
	v_sub_f16_e32 v65, v13, v11
	v_sub_f16_e32 v69, v15, v9
	v_add_f16_e32 v65, v69, v65
	v_fma_f16 v69, v58, s4, v53
	v_fma_f16 v53, v58, s0, v53
	;; [unrolled: 1-line block ×6, first 2 shown]
	v_add_f16_sdwa v65, v9, v11 dst_sel:DWORD dst_unused:UNUSED_PAD src0_sel:WORD_1 src1_sel:WORD_1
	v_fma_f16 v60, v65, -0.5, v60
	v_sub_f16_sdwa v9, v15, v9 dst_sel:DWORD dst_unused:UNUSED_PAD src0_sel:WORD_1 src1_sel:WORD_1
	v_sub_f16_sdwa v11, v13, v11 dst_sel:DWORD dst_unused:UNUSED_PAD src0_sel:WORD_1 src1_sel:WORD_1
	v_add_f16_e32 v9, v9, v11
	v_fma_f16 v11, v63, s0, v60
	v_fma_f16 v13, v63, s4, v60
	;; [unrolled: 1-line block ×6, first 2 shown]
	v_sub_f16_e32 v13, v16, v18
	v_sub_f16_e32 v15, v22, v20
	v_add_f16_e32 v13, v15, v13
	v_add_f16_e32 v15, v20, v18
	v_fma_f16 v15, v15, -0.5, v24
	v_fma_f16 v24, v47, s4, v15
	v_fma_f16 v15, v47, s0, v15
	;; [unrolled: 1-line block ×6, first 2 shown]
	v_add_f16_sdwa v15, v20, v18 dst_sel:DWORD dst_unused:UNUSED_PAD src0_sel:WORD_1 src1_sel:WORD_1
	v_fma_f16 v15, v15, -0.5, v48
	v_sub_f16_sdwa v20, v22, v20 dst_sel:DWORD dst_unused:UNUSED_PAD src0_sel:WORD_1 src1_sel:WORD_1
	v_sub_f16_sdwa v16, v16, v18 dst_sel:DWORD dst_unused:UNUSED_PAD src0_sel:WORD_1 src1_sel:WORD_1
	v_fma_f16 v18, v51, s0, v15
	v_fma_f16 v15, v51, s4, v15
	v_add_f16_e32 v16, v20, v16
	v_fma_f16 v15, v50, s1, v15
	v_fma_f16 v18, v50, s3, v18
	;; [unrolled: 1-line block ×4, first 2 shown]
	s_mov_b32 s7, 0xb4f2
	v_mul_f16_e32 v20, 0xbb9c, v15
	v_mul_f16_e32 v15, 0xb4f2, v15
	;; [unrolled: 1-line block ×4, first 2 shown]
	v_fma_f16 v20, v13, s7, v20
	v_fma_f16 v13, v13, s4, v15
	;; [unrolled: 1-line block ×4, first 2 shown]
	v_add_f16_e32 v15, v53, v20
	v_add_f16_e32 v22, v9, v13
	v_pack_b32_f16 v15, v15, v22
	v_add_f16_e32 v22, v69, v16
	v_add_f16_e32 v24, v11, v18
	v_pack_b32_f16 v22, v22, v24
	ds_write2_b32 v66, v22, v15 offset0:2 offset1:3
	v_fma_f16 v15, v57, s4, v56
	v_fma_f16 v15, v58, s3, v15
	;; [unrolled: 1-line block ×12, first 2 shown]
	s_mov_b32 s6, 0xba79
	v_mul_f16_e32 v40, 0xb8b4, v39
	v_mul_f16_e32 v39, 0xba79, v39
	v_fma_f16 v40, v24, s6, v40
	v_fma_f16 v24, v24, s3, v39
	v_add_f16_e32 v42, v15, v40
	v_add_f16_e32 v44, v22, v24
	v_pk_add_f16 v39, v67, v68 neg_lo:[0,1] neg_hi:[0,1]
	v_pack_b32_f16 v42, v42, v44
	ds_write2_b32 v66, v42, v39 offset0:4 offset1:5
	v_sub_f16_e32 v39, v59, v52
	v_sub_f16_e32 v16, v69, v16
	;; [unrolled: 1-line block ×4, first 2 shown]
	v_pack_b32_f16 v11, v16, v11
	v_pack_b32_f16 v16, v39, v42
	ds_write2_b32 v66, v16, v11 offset0:6 offset1:7
	v_sub_f16_e32 v11, v53, v20
	v_sub_f16_e32 v15, v15, v40
	;; [unrolled: 1-line block ×4, first 2 shown]
	v_pack_b32_f16 v13, v15, v13
	v_pack_b32_f16 v9, v11, v9
	v_add_f16_e32 v11, v23, v17
	v_add_f16_e32 v39, v21, v19
	ds_write2_b32 v66, v9, v13 offset0:8 offset1:9
	v_pk_add_f16 v9, v25, v21
	v_add_f16_sdwa v18, v23, v17 dst_sel:DWORD dst_unused:UNUSED_PAD src0_sel:WORD_1 src1_sel:WORD_1
	v_fma_f16 v11, v11, -0.5, v25
	v_fma_f16 v39, v39, -0.5, v25
	v_lshrrev_b32_e32 v25, 16, v25
	v_pk_add_f16 v9, v9, v23
	v_sub_f16_sdwa v22, v21, v23 dst_sel:DWORD dst_unused:UNUSED_PAD src0_sel:WORD_1 src1_sel:WORD_1
	v_sub_f16_e32 v40, v21, v19
	v_sub_f16_sdwa v45, v19, v17 dst_sel:DWORD dst_unused:UNUSED_PAD src0_sel:WORD_1 src1_sel:WORD_1
	v_fma_f16 v18, v18, -0.5, v25
	v_sub_f16_e32 v15, v21, v23
	v_sub_f16_e32 v20, v23, v17
	v_sub_f16_sdwa v24, v21, v19 dst_sel:DWORD dst_unused:UNUSED_PAD src0_sel:WORD_1 src1_sel:WORD_1
	v_pk_add_f16 v9, v9, v17
	v_sub_f16_e32 v42, v19, v17
	v_add_f16_e32 v22, v22, v45
	v_fma_f16 v45, v40, s4, v18
	v_sub_f16_sdwa v13, v23, v17 dst_sel:DWORD dst_unused:UNUSED_PAD src0_sel:WORD_1 src1_sel:WORD_1
	v_sub_f16_e32 v16, v23, v21
	v_sub_f16_sdwa v23, v23, v21 dst_sel:DWORD dst_unused:UNUSED_PAD src0_sel:WORD_1 src1_sel:WORD_1
	v_add_f16_sdwa v21, v21, v19 dst_sel:DWORD dst_unused:UNUSED_PAD src0_sel:WORD_1 src1_sel:WORD_1
	v_sub_f16_e32 v44, v17, v19
	v_sub_f16_sdwa v17, v17, v19 dst_sel:DWORD dst_unused:UNUSED_PAD src0_sel:WORD_1 src1_sel:WORD_1
	v_pk_add_f16 v9, v9, v19
	v_sub_f16_e32 v19, v34, v32
	v_sub_f16_e32 v46, v28, v30
	v_add_f16_e32 v15, v15, v42
	v_fma_f16 v42, v24, s0, v11
	v_fma_f16 v45, v20, s3, v45
	v_add_f16_e32 v19, v46, v19
	v_sub_f16_sdwa v46, v28, v30 dst_sel:DWORD dst_unused:UNUSED_PAD src0_sel:WORD_1 src1_sel:WORD_1
	v_sub_f16_sdwa v47, v34, v32 dst_sel:DWORD dst_unused:UNUSED_PAD src0_sel:WORD_1 src1_sel:WORD_1
	v_fma_f16 v42, v13, s1, v42
	v_fma_f16 v45, v22, s2, v45
	v_add_f16_e32 v46, v46, v47
	v_fma_f16 v42, v15, s2, v42
	v_mul_f16_e32 v47, 0xb8b4, v45
	v_fma_f16 v47, v42, s5, v47
	v_mul_f16_e32 v42, 0x38b4, v42
	v_fma_f16 v42, v45, s5, v42
	v_add_f16_e32 v45, v30, v32
	v_add_f16_sdwa v51, v30, v32 dst_sel:DWORD dst_unused:UNUSED_PAD src0_sel:WORD_1 src1_sel:WORD_1
	v_lshrrev_b32_e32 v52, 16, v26
	v_fma_f16 v45, v45, -0.5, v26
	v_sub_f16_sdwa v48, v28, v34 dst_sel:DWORD dst_unused:UNUSED_PAD src0_sel:WORD_1 src1_sel:WORD_1
	v_fma_f16 v51, v51, -0.5, v52
	v_sub_f16_e32 v53, v28, v34
	v_fma_f16 v49, v48, s0, v45
	v_sub_f16_sdwa v50, v30, v32 dst_sel:DWORD dst_unused:UNUSED_PAD src0_sel:WORD_1 src1_sel:WORD_1
	v_fma_f16 v54, v53, s4, v51
	v_sub_f16_e32 v56, v30, v32
	v_fma_f16 v49, v50, s1, v49
	v_fma_f16 v54, v56, s3, v54
	v_pk_add_f16 v59, v26, v28
	v_fma_f16 v49, v19, s2, v49
	v_fma_f16 v54, v46, s2, v54
	v_pk_add_f16 v59, v59, v30
	v_add_f16_e32 v57, v49, v47
	v_add_f16_e32 v58, v54, v42
	v_pk_add_f16 v59, v59, v32
	v_pack_b32_f16 v57, v57, v58
	v_mul_i32_i24_e32 v58, 10, v5
	v_pk_add_f16 v59, v59, v34
	v_lshl_add_u32 v58, v58, 2, v37
	v_pk_add_f16 v60, v59, v9
	ds_write2_b32 v58, v60, v57 offset1:1
	v_sub_f16_e32 v57, v32, v34
	v_sub_f16_e32 v60, v30, v28
	v_add_f16_e32 v57, v60, v57
	v_add_f16_e32 v60, v28, v34
	v_fma_f16 v26, v60, -0.5, v26
	v_fma_f16 v60, v50, s4, v26
	v_fma_f16 v26, v50, s0, v26
	;; [unrolled: 1-line block ×6, first 2 shown]
	v_add_f16_sdwa v57, v28, v34 dst_sel:DWORD dst_unused:UNUSED_PAD src0_sel:WORD_1 src1_sel:WORD_1
	v_fma_f16 v52, v57, -0.5, v52
	v_sub_f16_sdwa v28, v30, v28 dst_sel:DWORD dst_unused:UNUSED_PAD src0_sel:WORD_1 src1_sel:WORD_1
	v_sub_f16_sdwa v30, v32, v34 dst_sel:DWORD dst_unused:UNUSED_PAD src0_sel:WORD_1 src1_sel:WORD_1
	v_add_f16_e32 v28, v28, v30
	v_fma_f16 v30, v56, s0, v52
	v_fma_f16 v32, v56, s4, v52
	v_fma_f16 v21, v21, -0.5, v25
	v_fma_f16 v30, v53, s3, v30
	v_fma_f16 v32, v53, s1, v32
	v_add_f16_e32 v17, v23, v17
	v_fma_f16 v23, v20, s0, v21
	v_fma_f16 v21, v20, s4, v21
	;; [unrolled: 1-line block ×8, first 2 shown]
	v_add_f16_e32 v16, v16, v44
	v_fma_f16 v32, v24, s1, v32
	v_fma_f16 v34, v24, s3, v34
	;; [unrolled: 1-line block ×6, first 2 shown]
	v_mul_f16_e32 v25, 0xbb9c, v17
	v_mul_f16_e32 v17, 0xb4f2, v17
	;; [unrolled: 1-line block ×4, first 2 shown]
	v_fma_f16 v25, v16, s7, v25
	v_fma_f16 v16, v16, s4, v17
	;; [unrolled: 1-line block ×4, first 2 shown]
	v_add_f16_e32 v17, v26, v25
	v_add_f16_e32 v32, v28, v16
	v_pack_b32_f16 v17, v17, v32
	v_add_f16_e32 v32, v60, v21
	v_add_f16_e32 v34, v30, v23
	v_pack_b32_f16 v32, v32, v34
	v_fma_f16 v11, v24, s4, v11
	ds_write2_b32 v58, v32, v17 offset0:2 offset1:3
	v_fma_f16 v17, v48, s4, v45
	v_fma_f16 v11, v13, s3, v11
	;; [unrolled: 1-line block ×10, first 2 shown]
	v_mul_f16_e32 v15, 0xb8b4, v13
	v_mul_f16_e32 v13, 0xba79, v13
	v_fma_f16 v19, v46, s2, v19
	v_fma_f16 v15, v11, s6, v15
	;; [unrolled: 1-line block ×3, first 2 shown]
	v_add_f16_e32 v13, v17, v15
	v_add_f16_e32 v18, v19, v11
	v_pk_add_f16 v9, v59, v9 neg_lo:[0,1] neg_hi:[0,1]
	v_pack_b32_f16 v13, v13, v18
	ds_write2_b32 v58, v13, v9 offset0:4 offset1:5
	v_sub_f16_e32 v9, v49, v47
	v_sub_f16_e32 v13, v60, v21
	v_sub_f16_e32 v18, v54, v42
	v_sub_f16_e32 v20, v30, v23
	v_pack_b32_f16 v13, v13, v20
	v_pack_b32_f16 v9, v9, v18
	ds_write2_b32 v58, v9, v13 offset0:6 offset1:7
	v_sub_f16_e32 v9, v26, v25
	v_sub_f16_e32 v13, v17, v15
	;; [unrolled: 1-line block ×4, first 2 shown]
	v_pack_b32_f16 v11, v13, v11
	v_pack_b32_f16 v9, v9, v15
	ds_write2_b32 v58, v9, v11 offset0:8 offset1:9
	v_add_f16_e32 v11, v31, v33
	v_sub_f16_e32 v13, v29, v31
	v_add_f16_e32 v22, v29, v35
	v_sub_f16_e32 v25, v35, v33
	v_pk_add_f16 v9, v27, v29
	v_sub_f16_sdwa v19, v29, v31 dst_sel:DWORD dst_unused:UNUSED_PAD src0_sel:WORD_1 src1_sel:WORD_1
	v_sub_f16_sdwa v28, v35, v33 dst_sel:DWORD dst_unused:UNUSED_PAD src0_sel:WORD_1 src1_sel:WORD_1
	v_add_f16_e32 v25, v13, v25
	v_fma_f16 v30, v11, -0.5, v27
	v_fma_f16 v13, v22, -0.5, v27
	v_lshrrev_b32_e32 v22, 16, v27
	v_sub_f16_e32 v11, v55, v10
	v_sub_f16_e32 v27, v14, v12
	v_pk_add_f16 v9, v9, v31
	v_add_f16_e32 v19, v19, v28
	v_add_f16_e32 v27, v27, v11
	v_pk_add_f16 v11, v8, v14
	v_add_f16_e32 v28, v12, v10
	v_add_f16_e32 v40, v14, v55
	v_sub_f16_sdwa v15, v31, v33 dst_sel:DWORD dst_unused:UNUSED_PAD src0_sel:WORD_1 src1_sel:WORD_1
	v_sub_f16_e32 v16, v31, v29
	v_add_f16_sdwa v17, v31, v33 dst_sel:DWORD dst_unused:UNUSED_PAD src0_sel:WORD_1 src1_sel:WORD_1
	v_sub_f16_e32 v18, v31, v33
	v_sub_f16_sdwa v20, v31, v29 dst_sel:DWORD dst_unused:UNUSED_PAD src0_sel:WORD_1 src1_sel:WORD_1
	v_sub_f16_sdwa v21, v29, v35 dst_sel:DWORD dst_unused:UNUSED_PAD src0_sel:WORD_1 src1_sel:WORD_1
	v_sub_f16_e32 v23, v29, v35
	v_add_f16_sdwa v24, v29, v35 dst_sel:DWORD dst_unused:UNUSED_PAD src0_sel:WORD_1 src1_sel:WORD_1
	v_pk_add_f16 v9, v9, v33
	v_sub_f16_e32 v26, v33, v35
	v_sub_f16_sdwa v29, v33, v35 dst_sel:DWORD dst_unused:UNUSED_PAD src0_sel:WORD_1 src1_sel:WORD_1
	v_pk_add_f16 v11, v11, v12
	v_add_f16_sdwa v33, v12, v10 dst_sel:DWORD dst_unused:UNUSED_PAD src0_sel:WORD_1 src1_sel:WORD_1
	v_fma_f16 v28, v28, -0.5, v8
	v_fma_f16 v40, v40, -0.5, v8
	v_lshrrev_b32_e32 v8, 16, v8
	v_sub_f16_e32 v42, v14, v55
	v_pk_add_f16 v11, v11, v10
	v_fma_f16 v33, v33, -0.5, v8
	v_pk_add_f16 v9, v9, v35
	v_sub_f16_e32 v34, v12, v10
	v_sub_f16_sdwa v35, v14, v12 dst_sel:DWORD dst_unused:UNUSED_PAD src0_sel:WORD_1 src1_sel:WORD_1
	v_sub_f16_sdwa v39, v14, v55 dst_sel:DWORD dst_unused:UNUSED_PAD src0_sel:WORD_1 src1_sel:WORD_1
	;; [unrolled: 1-line block ×3, first 2 shown]
	v_pk_add_f16 v47, v11, v55
	v_fma_f16 v11, v42, s4, v33
	v_sub_f16_sdwa v31, v12, v10 dst_sel:DWORD dst_unused:UNUSED_PAD src0_sel:WORD_1 src1_sel:WORD_1
	v_sub_f16_e32 v44, v10, v55
	v_sub_f16_sdwa v46, v10, v55 dst_sel:DWORD dst_unused:UNUSED_PAD src0_sel:WORD_1 src1_sel:WORD_1
	v_add_f16_e32 v35, v35, v45
	v_fma_f16 v10, v39, s0, v28
	v_fma_f16 v11, v34, s3, v11
	;; [unrolled: 1-line block ×5, first 2 shown]
	v_mul_f16_e32 v45, 0xb8b4, v11
	v_fma_f16 v45, v10, s5, v45
	v_mul_f16_e32 v10, 0x38b4, v10
	v_fma_f16 v48, v11, s5, v10
	v_fma_f16 v10, v21, s0, v30
	;; [unrolled: 1-line block ×4, first 2 shown]
	v_fma_f16 v17, v17, -0.5, v22
	v_add_f16_e32 v49, v10, v45
	v_sub_f16_e32 v11, v10, v45
	v_fma_f16 v45, v23, s4, v17
	v_fma_f16 v45, v18, s3, v45
	;; [unrolled: 1-line block ×3, first 2 shown]
	v_pk_add_f16 v10, v9, v47 neg_lo:[0,1] neg_hi:[0,1]
	v_pk_add_f16 v9, v9, v47
	v_add_f16_e32 v47, v45, v48
	v_pack_b32_f16 v47, v49, v47
	v_mul_i32_i24_e32 v49, 10, v7
	v_lshl_add_u32 v50, v49, 2, v37
	ds_write2_b32 v50, v9, v47 offset1:1
	v_add_f16_e32 v9, v16, v26
	v_fma_f16 v16, v15, s4, v13
	v_fma_f16 v13, v15, s0, v13
	;; [unrolled: 1-line block ×6, first 2 shown]
	v_fma_f16 v13, v24, -0.5, v22
	v_fma_f16 v22, v18, s0, v13
	v_fma_f16 v13, v18, s4, v13
	v_sub_f16_e32 v32, v12, v14
	v_sub_f16_sdwa v12, v12, v14 dst_sel:DWORD dst_unused:UNUSED_PAD src0_sel:WORD_1 src1_sel:WORD_1
	v_add_f16_sdwa v14, v14, v55 dst_sel:DWORD dst_unused:UNUSED_PAD src0_sel:WORD_1 src1_sel:WORD_1
	v_add_f16_e32 v20, v20, v29
	v_fma_f16 v22, v23, s3, v22
	v_fma_f16 v13, v23, s1, v13
	;; [unrolled: 1-line block ×6, first 2 shown]
	v_add_f16_e32 v13, v32, v44
	v_fma_f16 v24, v39, s1, v24
	v_fma_f16 v26, v39, s3, v26
	v_fma_f16 v8, v14, -0.5, v8
	v_fma_f16 v24, v13, s2, v24
	v_fma_f16 v26, v13, s2, v26
	;; [unrolled: 1-line block ×4, first 2 shown]
	v_add_f16_e32 v12, v12, v46
	v_fma_f16 v13, v42, s3, v13
	v_fma_f16 v8, v42, s1, v8
	;; [unrolled: 1-line block ×4, first 2 shown]
	v_mul_f16_e32 v12, 0xbb9c, v14
	v_mul_f16_e32 v13, 0xbb9c, v8
	;; [unrolled: 1-line block ×3, first 2 shown]
	v_fma_f16 v12, v24, s2, v12
	v_fma_f16 v29, v26, s7, v13
	v_mul_f16_e32 v14, 0x34f2, v14
	v_fma_f16 v8, v26, s4, v8
	v_add_f16_e32 v32, v16, v12
	v_sub_f16_e32 v12, v16, v12
	v_sub_f16_e32 v13, v9, v29
	v_add_f16_e32 v9, v9, v29
	v_fma_f16 v14, v24, s4, v14
	v_add_f16_e32 v16, v20, v8
	v_pack_b32_f16 v9, v9, v16
	v_add_f16_e32 v16, v22, v14
	v_pack_b32_f16 v16, v32, v16
	v_sub_f16_e32 v47, v45, v48
	v_sub_f16_e32 v45, v22, v14
	ds_write2_b32 v50, v16, v9 offset0:2 offset1:3
	v_pack_b32_f16 v9, v12, v45
	v_pack_b32_f16 v14, v11, v47
	ds_write2_b32 v50, v14, v9 offset0:6 offset1:7
	v_fma_f16 v14, v23, s0, v17
	v_fma_f16 v9, v21, s4, v30
	v_fma_f16 v14, v18, s1, v14
	v_fma_f16 v16, v42, s0, v33
	v_fma_f16 v9, v15, s3, v9
	v_fma_f16 v15, v19, s2, v14
	v_fma_f16 v14, v39, s4, v28
	v_fma_f16 v16, v34, s1, v16
	v_fma_f16 v14, v31, s3, v14
	v_fma_f16 v16, v35, s2, v16
	v_fma_f16 v14, v27, s2, v14
	v_mul_f16_e32 v17, 0xb8b4, v16
	v_mul_f16_e32 v16, 0xba79, v16
	v_fma_f16 v9, v25, s2, v9
	v_fma_f16 v17, v14, s6, v17
	;; [unrolled: 1-line block ×3, first 2 shown]
	v_sub_f16_e32 v48, v20, v8
	v_sub_f16_e32 v49, v15, v16
	;; [unrolled: 1-line block ×3, first 2 shown]
	v_pack_b32_f16 v8, v14, v49
	v_pack_b32_f16 v18, v13, v48
	v_add_f16_e32 v44, v9, v17
	v_add_f16_e32 v46, v15, v16
	ds_write2_b32 v50, v18, v8 offset0:8 offset1:9
	v_pack_b32_f16 v8, v44, v46
	v_lshl_add_u32 v39, v7, 2, v37
	ds_write2_b32 v50, v8, v10 offset0:4 offset1:5
	s_waitcnt lgkmcnt(0)
	; wave barrier
	s_waitcnt lgkmcnt(0)
	ds_read_b32 v55, v36
	ds_read_u16 v57, v6 offset:1682
	v_lshl_add_u32 v40, v5, 2, v37
	ds_read_b32 v53, v39
	ds_read_b32 v54, v40
	ds_read_b32 v56, v6 offset:1808
	ds_read2_b32 v[32:33], v6 offset0:60 offset1:76
	ds_read2_b32 v[28:29], v6 offset0:92 offset1:120
	;; [unrolled: 1-line block ×8, first 2 shown]
	ds_read2_b32 v[26:27], v41 offset1:16
	ds_read2_b32 v[18:19], v41 offset0:120 offset1:136
	v_cmp_gt_u32_e64 s[0:1], 12, v0
	v_lshlrev_b32_e32 v42, 2, v4
                                        ; implicit-def: $vgpr52
                                        ; implicit-def: $vgpr51
                                        ; implicit-def: $vgpr50
	s_and_saveexec_b64 s[2:3], s[0:1]
	s_cbranch_execz .LBB0_15
; %bb.14:
	v_add3_u32 v8, 0, v42, v38
	ds_read_b32 v44, v8
	ds_read2_b32 v[10:11], v6 offset0:108 offset1:168
	ds_read2_b32 v[12:13], v43 offset0:100 offset1:160
	;; [unrolled: 1-line block ×3, first 2 shown]
	ds_read_b32 v50, v6 offset:1872
	s_waitcnt lgkmcnt(4)
	v_lshrrev_b32_e32 v46, 16, v44
	s_waitcnt lgkmcnt(3)
	v_lshrrev_b32_e32 v47, 16, v11
	;; [unrolled: 2-line block ×3, first 2 shown]
	v_lshrrev_b32_e32 v48, 16, v13
	s_waitcnt lgkmcnt(1)
	v_lshrrev_b32_e32 v49, 16, v14
	v_lshrrev_b32_e32 v52, 16, v15
	s_waitcnt lgkmcnt(0)
	v_lshrrev_b32_e32 v51, 16, v50
.LBB0_15:
	s_or_b64 exec, exec, s[2:3]
	v_add_u32_e32 v8, -10, v0
	v_cmp_gt_u32_e64 s[2:3], 10, v0
	v_cndmask_b32_e64 v41, v8, v0, s[2:3]
	v_mul_i32_i24_e32 v8, 7, v41
	v_mov_b32_e32 v9, 0
	v_lshlrev_b64 v[58:59], 2, v[8:9]
	v_mov_b32_e32 v8, s9
	v_add_co_u32_e64 v73, s[2:3], s8, v58
	s_movk_i32 s4, 0xcd
	v_addc_co_u32_e64 v74, s[2:3], v8, v59, s[2:3]
	v_mul_lo_u16_sdwa v8, v5, s4 dst_sel:DWORD dst_unused:UNUSED_PAD src0_sel:BYTE_0 src1_sel:DWORD
	v_lshrrev_b16_e32 v79, 11, v8
	v_mul_lo_u16_e32 v8, 10, v79
	v_mul_lo_u16_sdwa v66, v7, s4 dst_sel:DWORD dst_unused:UNUSED_PAD src0_sel:BYTE_0 src1_sel:DWORD
	v_sub_u16_e32 v80, v5, v8
	v_lshrrev_b16_e32 v81, 11, v66
	v_mov_b32_e32 v43, 2
	v_mul_lo_u16_e32 v8, 7, v80
	v_mul_lo_u16_e32 v66, 10, v81
	global_load_dwordx4 v[58:61], v[73:74], off
	v_lshlrev_b32_sdwa v75, v43, v8 dst_sel:DWORD dst_unused:UNUSED_PAD src0_sel:DWORD src1_sel:BYTE_0
	global_load_dwordx4 v[62:65], v75, s[8:9]
	v_mov_b32_e32 v8, 7
	v_sub_u16_e32 v82, v7, v66
	v_mul_u32_u24_sdwa v66, v82, v8 dst_sel:DWORD dst_unused:UNUSED_PAD src0_sel:BYTE_0 src1_sel:DWORD
	v_lshlrev_b32_e32 v76, 2, v66
	global_load_dwordx4 v[66:69], v76, s[8:9]
	global_load_dwordx3 v[70:72], v[73:74], off offset:16
	s_waitcnt lgkmcnt(8)
	v_lshrrev_b32_e32 v87, 16, v29
	global_load_dwordx3 v[73:75], v75, s[8:9] offset:16
	s_waitcnt lgkmcnt(7)
	v_lshrrev_b32_e32 v88, 16, v34
	global_load_dwordx3 v[76:78], v76, s[8:9] offset:16
	s_waitcnt lgkmcnt(6)
	v_lshrrev_b32_e32 v89, 16, v25
	v_lshrrev_b32_e32 v86, 16, v32
	;; [unrolled: 1-line block ×3, first 2 shown]
	s_waitcnt lgkmcnt(1)
	v_lshrrev_b32_e32 v91, 16, v26
	v_lshrrev_b32_e32 v92, 16, v33
	;; [unrolled: 1-line block ×6, first 2 shown]
	s_waitcnt lgkmcnt(0)
	v_lshrrev_b32_e32 v94, 16, v18
	v_lshrrev_b32_e32 v93, 16, v23
	;; [unrolled: 1-line block ×5, first 2 shown]
	s_mov_b32 s5, 0xb9a8
	s_movk_i32 s6, 0x39a8
	v_cmp_lt_u32_e64 s[2:3], 9, v0
	s_waitcnt lgkmcnt(0)
	; wave barrier
	s_waitcnt vmcnt(5)
	v_mul_f16_sdwa v101, v59, v87 dst_sel:DWORD dst_unused:UNUSED_PAD src0_sel:WORD_1 src1_sel:DWORD
	v_mul_f16_sdwa v102, v59, v29 dst_sel:DWORD dst_unused:UNUSED_PAD src0_sel:WORD_1 src1_sel:DWORD
	;; [unrolled: 1-line block ×8, first 2 shown]
	v_fma_f16 v87, v59, v87, -v102
	v_fma_f16 v88, v60, v88, -v104
	;; [unrolled: 1-line block ×3, first 2 shown]
	v_fma_f16 v29, v59, v29, v101
	v_fma_f16 v34, v60, v34, v103
	v_fma_f16 v25, v61, v25, v106
	s_waitcnt vmcnt(4)
	v_mul_f16_sdwa v60, v90, v64 dst_sel:DWORD dst_unused:UNUSED_PAD src0_sel:DWORD src1_sel:WORD_1
	v_mul_f16_sdwa v61, v35, v64 dst_sel:DWORD dst_unused:UNUSED_PAD src0_sel:DWORD src1_sel:WORD_1
	;; [unrolled: 1-line block ×4, first 2 shown]
	v_fma_f16 v86, v58, v86, -v100
	v_fma_f16 v32, v58, v32, v99
	v_mul_f16_sdwa v58, v62, v92 dst_sel:DWORD dst_unused:UNUSED_PAD src0_sel:WORD_1 src1_sel:DWORD
	v_mul_f16_sdwa v59, v62, v33 dst_sel:DWORD dst_unused:UNUSED_PAD src0_sel:WORD_1 src1_sel:DWORD
	s_waitcnt vmcnt(3)
	v_mul_f16_sdwa v103, v95, v66 dst_sel:DWORD dst_unused:UNUSED_PAD src0_sel:DWORD src1_sel:WORD_1
	v_mul_f16_sdwa v104, v28, v66 dst_sel:DWORD dst_unused:UNUSED_PAD src0_sel:DWORD src1_sel:WORD_1
	v_fma_f16 v35, v35, v64, v60
	v_fma_f16 v60, v90, v64, -v61
	v_fma_f16 v61, v91, v65, -v101
	v_fma_f16 v26, v26, v65, v102
	v_lshrrev_b32_e32 v65, 16, v27
	v_mul_f16_sdwa v107, v98, v68 dst_sel:DWORD dst_unused:UNUSED_PAD src0_sel:DWORD src1_sel:WORD_1
	v_fma_f16 v33, v62, v33, v58
	v_fma_f16 v58, v62, v92, -v59
	v_fma_f16 v28, v28, v66, v103
	v_fma_f16 v62, v95, v66, -v104
	v_mul_f16_sdwa v66, v65, v69 dst_sel:DWORD dst_unused:UNUSED_PAD src0_sel:DWORD src1_sel:WORD_1
	v_fma_f16 v64, v24, v68, v107
	v_mul_f16_sdwa v24, v24, v68 dst_sel:DWORD dst_unused:UNUSED_PAD src0_sel:DWORD src1_sel:WORD_1
	v_fma_f16 v66, v27, v69, v66
	v_mul_f16_sdwa v27, v27, v69 dst_sel:DWORD dst_unused:UNUSED_PAD src0_sel:DWORD src1_sel:WORD_1
	v_fma_f16 v24, v98, v68, -v24
	v_fma_f16 v27, v65, v69, -v27
	v_lshrrev_b32_e32 v65, 16, v22
	v_lshrrev_b32_e32 v68, 16, v17
	v_mul_f16_sdwa v99, v30, v63 dst_sel:DWORD dst_unused:UNUSED_PAD src0_sel:DWORD src1_sel:WORD_1
	s_waitcnt vmcnt(2)
	v_mul_f16_sdwa v69, v70, v65 dst_sel:DWORD dst_unused:UNUSED_PAD src0_sel:WORD_1 src1_sel:DWORD
	v_mul_f16_sdwa v90, v71, v68 dst_sel:DWORD dst_unused:UNUSED_PAD src0_sel:WORD_1 src1_sel:DWORD
	v_mul_f16_sdwa v100, v85, v63 dst_sel:DWORD dst_unused:UNUSED_PAD src0_sel:DWORD src1_sel:WORD_1
	v_fma_f16 v59, v85, v63, -v99
	v_mul_f16_sdwa v85, v70, v22 dst_sel:DWORD dst_unused:UNUSED_PAD src0_sel:WORD_1 src1_sel:DWORD
	v_fma_f16 v22, v70, v22, v69
	v_fma_f16 v69, v71, v17, v90
	v_mul_f16_sdwa v17, v71, v17 dst_sel:DWORD dst_unused:UNUSED_PAD src0_sel:WORD_1 src1_sel:DWORD
	v_fma_f16 v17, v71, v68, -v17
	v_mul_f16_sdwa v68, v72, v20 dst_sel:DWORD dst_unused:UNUSED_PAD src0_sel:WORD_1 src1_sel:DWORD
	v_fma_f16 v68, v57, v72, -v68
	v_mul_f16_sdwa v57, v57, v72 dst_sel:DWORD dst_unused:UNUSED_PAD src0_sel:DWORD src1_sel:WORD_1
	v_fma_f16 v20, v72, v20, v57
	s_waitcnt vmcnt(1)
	v_mul_f16_sdwa v72, v97, v75 dst_sel:DWORD dst_unused:UNUSED_PAD src0_sel:DWORD src1_sel:WORD_1
	v_fma_f16 v72, v21, v75, v72
	v_mul_f16_sdwa v21, v21, v75 dst_sel:DWORD dst_unused:UNUSED_PAD src0_sel:DWORD src1_sel:WORD_1
	v_fma_f16 v65, v70, v65, -v85
	v_lshrrev_b32_e32 v57, 16, v16
	v_fma_f16 v21, v97, v75, -v21
	v_mul_f16_sdwa v75, v18, v74 dst_sel:DWORD dst_unused:UNUSED_PAD src0_sel:DWORD src1_sel:WORD_1
	v_mul_f16_sdwa v85, v94, v74 dst_sel:DWORD dst_unused:UNUSED_PAD src0_sel:DWORD src1_sel:WORD_1
	v_fma_f16 v75, v94, v74, -v75
	v_fma_f16 v18, v18, v74, v85
	s_waitcnt vmcnt(0)
	v_mul_f16_sdwa v74, v57, v76 dst_sel:DWORD dst_unused:UNUSED_PAD src0_sel:DWORD src1_sel:WORD_1
	v_mul_f16_sdwa v70, v93, v73 dst_sel:DWORD dst_unused:UNUSED_PAD src0_sel:DWORD src1_sel:WORD_1
	v_lshrrev_b32_e32 v71, 16, v19
	v_fma_f16 v74, v16, v76, v74
	v_mul_f16_sdwa v16, v16, v76 dst_sel:DWORD dst_unused:UNUSED_PAD src0_sel:DWORD src1_sel:WORD_1
	v_fma_f16 v70, v23, v73, v70
	v_mul_f16_sdwa v23, v23, v73 dst_sel:DWORD dst_unused:UNUSED_PAD src0_sel:DWORD src1_sel:WORD_1
	v_fma_f16 v16, v57, v76, -v16
	v_mul_f16_sdwa v57, v71, v77 dst_sel:DWORD dst_unused:UNUSED_PAD src0_sel:DWORD src1_sel:WORD_1
	v_fma_f16 v23, v93, v73, -v23
	v_lshrrev_b32_e32 v73, 16, v56
	v_fma_f16 v57, v19, v77, v57
	v_mul_f16_sdwa v19, v19, v77 dst_sel:DWORD dst_unused:UNUSED_PAD src0_sel:DWORD src1_sel:WORD_1
	v_fma_f16 v19, v71, v77, -v19
	v_mul_f16_sdwa v71, v73, v78 dst_sel:DWORD dst_unused:UNUSED_PAD src0_sel:DWORD src1_sel:WORD_1
	v_fma_f16 v71, v56, v78, v71
	v_mul_f16_sdwa v56, v56, v78 dst_sel:DWORD dst_unused:UNUSED_PAD src0_sel:DWORD src1_sel:WORD_1
	v_fma_f16 v56, v73, v78, -v56
	v_sub_f16_e32 v25, v55, v25
	v_sub_f16_e32 v73, v83, v89
	;; [unrolled: 1-line block ×5, first 2 shown]
	v_fma_f16 v76, v83, 2.0, -v73
	v_sub_f16_e32 v69, v29, v69
	v_fma_f16 v77, v87, 2.0, -v17
	v_sub_f16_e32 v65, v86, v65
	v_sub_f16_e32 v20, v34, v20
	v_fma_f16 v83, v88, 2.0, -v68
	v_add_f16_e32 v17, v25, v17
	v_add_f16_e32 v68, v22, v68
	v_mul_f16_sdwa v106, v31, v67 dst_sel:DWORD dst_unused:UNUSED_PAD src0_sel:DWORD src1_sel:WORD_1
	v_fma_f16 v30, v30, v63, v100
	v_fma_f16 v55, v55, 2.0, -v25
	v_fma_f16 v29, v29, 2.0, -v69
	;; [unrolled: 1-line block ×4, first 2 shown]
	v_sub_f16_e32 v69, v73, v69
	v_fma_f16 v25, v25, 2.0, -v17
	v_sub_f16_e32 v20, v65, v20
	v_fma_f16 v22, v22, 2.0, -v68
	v_sub_f16_e32 v26, v54, v26
	v_sub_f16_e32 v75, v59, v75
	;; [unrolled: 1-line block ×4, first 2 shown]
	v_mul_f16_sdwa v105, v96, v67 dst_sel:DWORD dst_unused:UNUSED_PAD src0_sel:DWORD src1_sel:WORD_1
	v_fma_f16 v63, v96, v67, -v106
	v_fma_f16 v78, v86, 2.0, -v65
	v_fma_f16 v73, v73, 2.0, -v69
	;; [unrolled: 1-line block ×3, first 2 shown]
	v_fma_f16 v85, v22, s5, v25
	v_sub_f16_e32 v61, v84, v61
	v_sub_f16_e32 v18, v30, v18
	v_fma_f16 v59, v59, 2.0, -v75
	v_sub_f16_e32 v23, v58, v23
	v_sub_f16_e32 v72, v35, v72
	v_fma_f16 v60, v60, 2.0, -v21
	v_add_f16_e32 v75, v26, v75
	v_add_f16_e32 v21, v70, v21
	v_fma_f16 v31, v31, v67, v105
	v_lshrrev_b32_e32 v67, 16, v53
	v_fma_f16 v86, v65, s5, v73
	v_fma_f16 v65, v65, s6, v85
	;; [unrolled: 1-line block ×3, first 2 shown]
	v_fma_f16 v54, v54, 2.0, -v26
	v_fma_f16 v30, v30, 2.0, -v18
	;; [unrolled: 1-line block ×4, first 2 shown]
	v_sub_f16_e32 v18, v61, v18
	v_fma_f16 v26, v26, 2.0, -v75
	v_sub_f16_e32 v72, v23, v72
	v_fma_f16 v70, v70, 2.0, -v21
	v_sub_f16_e32 v66, v53, v66
	v_sub_f16_e32 v19, v63, v19
	;; [unrolled: 1-line block ×4, first 2 shown]
	v_fma_f16 v22, v22, s5, v86
	v_fma_f16 v86, v20, s6, v69
	v_fma_f16 v20, v20, s6, v85
	v_fma_f16 v84, v84, 2.0, -v61
	v_fma_f16 v58, v58, 2.0, -v23
	;; [unrolled: 1-line block ×4, first 2 shown]
	v_fma_f16 v85, v70, s5, v26
	v_sub_f16_e32 v27, v67, v27
	v_sub_f16_e32 v57, v31, v57
	v_fma_f16 v63, v63, 2.0, -v19
	v_sub_f16_e32 v16, v62, v16
	v_sub_f16_e32 v71, v64, v71
	v_fma_f16 v24, v24, 2.0, -v56
	v_add_f16_e32 v19, v66, v19
	v_add_f16_e32 v56, v74, v56
	v_fma_f16 v68, v68, s5, v86
	v_fma_f16 v86, v23, s5, v61
	;; [unrolled: 1-line block ×4, first 2 shown]
	v_fma_f16 v53, v53, 2.0, -v66
	v_fma_f16 v31, v31, 2.0, -v57
	;; [unrolled: 1-line block ×4, first 2 shown]
	v_sub_f16_e32 v57, v27, v57
	v_fma_f16 v66, v66, 2.0, -v19
	v_sub_f16_e32 v71, v16, v71
	v_fma_f16 v74, v74, 2.0, -v56
	v_fma_f16 v70, v70, s5, v86
	v_fma_f16 v86, v72, s6, v18
	;; [unrolled: 1-line block ×3, first 2 shown]
	v_fma_f16 v67, v67, 2.0, -v27
	v_fma_f16 v62, v62, 2.0, -v16
	;; [unrolled: 1-line block ×4, first 2 shown]
	v_fma_f16 v85, v74, s5, v66
	v_fma_f16 v21, v21, s5, v86
	;; [unrolled: 1-line block ×5, first 2 shown]
	v_sub_f16_e32 v29, v55, v29
	v_sub_f16_e32 v77, v76, v77
	;; [unrolled: 1-line block ×4, first 2 shown]
	v_fma_f16 v74, v74, s5, v86
	v_fma_f16 v86, v71, s6, v57
	;; [unrolled: 1-line block ×3, first 2 shown]
	v_mov_b32_e32 v85, 0x50
	v_fma_f16 v55, v55, 2.0, -v29
	v_fma_f16 v76, v76, 2.0, -v77
	;; [unrolled: 1-line block ×4, first 2 shown]
	v_cndmask_b32_e64 v85, 0, v85, s[2:3]
	v_sub_f16_e32 v32, v55, v32
	v_sub_f16_e32 v78, v76, v78
	v_or_b32_e32 v41, v85, v41
	v_fma_f16 v55, v55, 2.0, -v32
	v_fma_f16 v76, v76, 2.0, -v78
	;; [unrolled: 1-line block ×4, first 2 shown]
	v_add_f16_e32 v83, v29, v83
	v_sub_f16_e32 v34, v77, v34
	v_lshlrev_b32_e32 v41, 2, v41
	v_fma_f16 v29, v29, 2.0, -v83
	v_fma_f16 v77, v77, 2.0, -v34
	;; [unrolled: 1-line block ×4, first 2 shown]
	v_add3_u32 v41, 0, v41, v38
	v_pack_b32_f16 v55, v55, v76
	v_pack_b32_f16 v25, v25, v73
	ds_write2_b32 v41, v55, v25 offset1:10
	v_pack_b32_f16 v25, v29, v77
	v_pack_b32_f16 v17, v17, v69
	ds_write2_b32 v41, v25, v17 offset0:20 offset1:30
	v_pack_b32_f16 v17, v32, v78
	v_pack_b32_f16 v22, v65, v22
	v_sub_f16_e32 v30, v54, v30
	v_sub_f16_e32 v59, v84, v59
	;; [unrolled: 1-line block ×4, first 2 shown]
	ds_write2_b32 v41, v17, v22 offset0:40 offset1:50
	v_pack_b32_f16 v17, v83, v34
	v_pack_b32_f16 v20, v20, v68
	v_fma_f16 v54, v54, 2.0, -v30
	v_fma_f16 v84, v84, 2.0, -v59
	;; [unrolled: 1-line block ×4, first 2 shown]
	ds_write2_b32 v41, v17, v20 offset0:60 offset1:70
	v_mul_lo_u16_e32 v17, 0x50, v79
	v_sub_f16_e32 v33, v54, v33
	v_sub_f16_e32 v58, v84, v58
	v_or_b32_e32 v17, v17, v80
	v_fma_f16 v54, v54, 2.0, -v33
	v_fma_f16 v84, v84, 2.0, -v58
	;; [unrolled: 1-line block ×4, first 2 shown]
	v_add_f16_e32 v60, v30, v60
	v_sub_f16_e32 v35, v59, v35
	v_lshlrev_b32_sdwa v17, v43, v17 dst_sel:DWORD dst_unused:UNUSED_PAD src0_sel:DWORD src1_sel:BYTE_0
	v_fma_f16 v30, v30, 2.0, -v60
	v_fma_f16 v59, v59, 2.0, -v35
	;; [unrolled: 1-line block ×4, first 2 shown]
	v_add3_u32 v17, 0, v17, v38
	v_pack_b32_f16 v20, v54, v84
	v_pack_b32_f16 v22, v26, v61
	ds_write2_b32 v17, v20, v22 offset1:10
	v_pack_b32_f16 v20, v30, v59
	v_pack_b32_f16 v18, v75, v18
	ds_write2_b32 v17, v20, v18 offset0:20 offset1:30
	v_pack_b32_f16 v18, v33, v58
	v_pack_b32_f16 v20, v23, v70
	v_sub_f16_e32 v31, v53, v31
	v_sub_f16_e32 v63, v67, v63
	;; [unrolled: 1-line block ×4, first 2 shown]
	ds_write2_b32 v17, v18, v20 offset0:40 offset1:50
	v_pack_b32_f16 v18, v60, v35
	v_pack_b32_f16 v20, v72, v21
	v_fma_f16 v53, v53, 2.0, -v31
	v_fma_f16 v67, v67, 2.0, -v63
	v_fma_f16 v28, v28, 2.0, -v64
	v_fma_f16 v62, v62, 2.0, -v24
	ds_write2_b32 v17, v18, v20 offset0:60 offset1:70
	v_mul_u32_u24_e32 v17, 0x50, v81
	v_sub_f16_e32 v28, v53, v28
	v_sub_f16_e32 v62, v67, v62
	v_or_b32_sdwa v17, v17, v82 dst_sel:DWORD dst_unused:UNUSED_PAD src0_sel:DWORD src1_sel:BYTE_0
	v_fma_f16 v53, v53, 2.0, -v28
	v_fma_f16 v67, v67, 2.0, -v62
	;; [unrolled: 1-line block ×4, first 2 shown]
	v_add_f16_e32 v24, v31, v24
	v_sub_f16_e32 v64, v63, v64
	v_fma_f16 v56, v56, s5, v86
	v_lshlrev_b32_e32 v17, 2, v17
	v_fma_f16 v31, v31, 2.0, -v24
	v_fma_f16 v63, v63, 2.0, -v64
	;; [unrolled: 1-line block ×4, first 2 shown]
	v_add3_u32 v17, 0, v17, v38
	v_pack_b32_f16 v18, v53, v67
	v_pack_b32_f16 v20, v66, v27
	ds_write2_b32 v17, v18, v20 offset1:10
	v_pack_b32_f16 v18, v31, v63
	v_pack_b32_f16 v19, v19, v57
	ds_write2_b32 v17, v18, v19 offset0:20 offset1:30
	v_pack_b32_f16 v18, v28, v62
	v_pack_b32_f16 v16, v16, v74
	ds_write2_b32 v17, v18, v16 offset0:40 offset1:50
	;; [unrolled: 3-line block ×3, first 2 shown]
	s_and_saveexec_b64 s[2:3], s[0:1]
	s_cbranch_execz .LBB0_17
; %bb.16:
	v_mul_lo_u16_sdwa v16, v4, s4 dst_sel:DWORD dst_unused:UNUSED_PAD src0_sel:BYTE_0 src1_sel:DWORD
	v_lshrrev_b16_e32 v23, 11, v16
	v_mul_lo_u16_e32 v16, 10, v23
	v_sub_u16_e32 v24, v4, v16
	v_mul_u32_u24_sdwa v8, v24, v8 dst_sel:DWORD dst_unused:UNUSED_PAD src0_sel:BYTE_0 src1_sel:DWORD
	v_lshlrev_b32_e32 v8, 2, v8
	global_load_dwordx4 v[16:19], v8, s[8:9]
	global_load_dwordx3 v[20:22], v8, s[8:9] offset:16
	v_lshrrev_b32_e32 v8, 16, v10
	v_mul_u32_u24_e32 v23, 0x50, v23
	v_or_b32_sdwa v23, v23, v24 dst_sel:DWORD dst_unused:UNUSED_PAD src0_sel:DWORD src1_sel:BYTE_0
	v_lshlrev_b32_e32 v23, 2, v23
	v_add3_u32 v23, 0, v23, v38
	s_waitcnt vmcnt(1)
	v_mul_f16_sdwa v24, v48, v19 dst_sel:DWORD dst_unused:UNUSED_PAD src0_sel:DWORD src1_sel:WORD_1
	v_mul_f16_sdwa v25, v11, v17 dst_sel:DWORD dst_unused:UNUSED_PAD src0_sel:DWORD src1_sel:WORD_1
	s_waitcnt vmcnt(0)
	v_mul_f16_sdwa v26, v15, v21 dst_sel:DWORD dst_unused:UNUSED_PAD src0_sel:DWORD src1_sel:WORD_1
	v_mul_f16_sdwa v27, v10, v16 dst_sel:DWORD dst_unused:UNUSED_PAD src0_sel:DWORD src1_sel:WORD_1
	v_mul_f16_sdwa v28, v14, v20 dst_sel:DWORD dst_unused:UNUSED_PAD src0_sel:DWORD src1_sel:WORD_1
	v_mul_f16_sdwa v29, v45, v18 dst_sel:DWORD dst_unused:UNUSED_PAD src0_sel:DWORD src1_sel:WORD_1
	v_mul_f16_sdwa v30, v51, v22 dst_sel:DWORD dst_unused:UNUSED_PAD src0_sel:DWORD src1_sel:WORD_1
	v_mul_f16_sdwa v31, v8, v16 dst_sel:DWORD dst_unused:UNUSED_PAD src0_sel:DWORD src1_sel:WORD_1
	v_mul_f16_sdwa v32, v49, v20 dst_sel:DWORD dst_unused:UNUSED_PAD src0_sel:DWORD src1_sel:WORD_1
	v_mul_f16_sdwa v33, v12, v18 dst_sel:DWORD dst_unused:UNUSED_PAD src0_sel:DWORD src1_sel:WORD_1
	v_mul_f16_sdwa v34, v50, v22 dst_sel:DWORD dst_unused:UNUSED_PAD src0_sel:DWORD src1_sel:WORD_1
	v_mul_f16_sdwa v35, v13, v19 dst_sel:DWORD dst_unused:UNUSED_PAD src0_sel:DWORD src1_sel:WORD_1
	v_mul_f16_sdwa v41, v47, v17 dst_sel:DWORD dst_unused:UNUSED_PAD src0_sel:DWORD src1_sel:WORD_1
	v_mul_f16_sdwa v43, v52, v21 dst_sel:DWORD dst_unused:UNUSED_PAD src0_sel:DWORD src1_sel:WORD_1
	v_fma_f16 v13, v13, v19, v24
	v_fma_f16 v24, v47, v17, -v25
	v_fma_f16 v25, v52, v21, -v26
	;; [unrolled: 1-line block ×4, first 2 shown]
	v_fma_f16 v12, v12, v18, v29
	v_fma_f16 v27, v50, v22, v30
	;; [unrolled: 1-line block ×4, first 2 shown]
	v_fma_f16 v16, v45, v18, -v33
	v_fma_f16 v18, v51, v22, -v34
	;; [unrolled: 1-line block ×3, first 2 shown]
	v_fma_f16 v11, v11, v17, v41
	v_fma_f16 v15, v15, v21, v43
	v_sub_f16_e32 v13, v44, v13
	v_sub_f16_e32 v17, v24, v25
	;; [unrolled: 1-line block ×8, first 2 shown]
	v_add_f16_e32 v22, v13, v17
	v_sub_f16_e32 v25, v20, v21
	v_add_f16_e32 v26, v14, v18
	v_sub_f16_e32 v27, v19, v15
	v_fma_f16 v28, v44, 2.0, -v13
	v_fma_f16 v11, v11, 2.0, -v15
	;; [unrolled: 1-line block ×8, first 2 shown]
	v_fma_f16 v18, v26, s6, v22
	v_fma_f16 v21, v25, s6, v27
	v_sub_f16_e32 v11, v28, v11
	v_sub_f16_e32 v15, v8, v15
	;; [unrolled: 1-line block ×4, first 2 shown]
	v_fma_f16 v13, v13, 2.0, -v22
	v_fma_f16 v20, v20, 2.0, -v25
	;; [unrolled: 1-line block ×4, first 2 shown]
	v_fma_f16 v18, v25, s6, v18
	v_fma_f16 v21, v26, s5, v21
	v_sub_f16_e32 v25, v17, v12
	v_fma_f16 v26, v14, s5, v13
	v_fma_f16 v29, v20, s5, v19
	v_fma_f16 v28, v28, 2.0, -v11
	v_fma_f16 v10, v10, 2.0, -v12
	;; [unrolled: 1-line block ×4, first 2 shown]
	v_fma_f16 v20, v20, s6, v26
	v_fma_f16 v14, v14, s5, v29
	v_sub_f16_e32 v10, v28, v10
	v_sub_f16_e32 v8, v12, v8
	v_add_f16_e32 v24, v11, v15
	v_fma_f16 v15, v22, 2.0, -v18
	v_fma_f16 v13, v13, 2.0, -v20
	;; [unrolled: 1-line block ×8, first 2 shown]
	v_pack_b32_f16 v12, v22, v12
	v_pack_b32_f16 v13, v13, v19
	;; [unrolled: 1-line block ×4, first 2 shown]
	ds_write2_b32 v23, v12, v13 offset1:10
	v_pack_b32_f16 v11, v11, v17
	v_pack_b32_f16 v12, v15, v16
	ds_write2_b32 v23, v8, v10 offset0:40 offset1:50
	v_pack_b32_f16 v8, v24, v25
	v_pack_b32_f16 v10, v18, v21
	ds_write2_b32 v23, v11, v12 offset0:20 offset1:30
	ds_write2_b32 v23, v8, v10 offset0:60 offset1:70
.LBB0_17:
	s_or_b64 exec, exec, s[2:3]
	v_mul_u32_u24_e32 v8, 5, v0
	v_lshlrev_b32_e32 v18, 2, v8
	s_waitcnt lgkmcnt(0)
	; wave barrier
	s_waitcnt lgkmcnt(0)
	global_load_dwordx4 v[12:15], v18, s[8:9] offset:280
	v_mul_i32_i24_e32 v8, 5, v5
	v_lshlrev_b64 v[16:17], 2, v[8:9]
	v_or_b32_e32 v22, 64, v0
	v_mul_i32_i24_e32 v8, 5, v7
	v_mov_b32_e32 v26, s9
	v_add_co_u32_e64 v20, s[0:1], s8, v16
	v_mul_u32_u24_e32 v28, 5, v22
	v_lshlrev_b64 v[22:23], 2, v[8:9]
	v_addc_co_u32_e64 v21, s[0:1], v26, v17, s[0:1]
	v_mul_i32_i24_e32 v8, 5, v4
	v_lshlrev_b64 v[8:9], 2, v[8:9]
	v_add_co_u32_e64 v24, s[0:1], s8, v22
	v_addc_co_u32_e64 v25, s[0:1], v26, v23, s[0:1]
	v_add_co_u32_e64 v8, s[0:1], s8, v8
	v_add_u32_e32 v10, 0x400, v6
	v_addc_co_u32_e64 v9, s[0:1], v26, v9, s[0:1]
	ds_read2_b32 v[32:33], v6 offset0:64 offset1:80
	ds_read2_b32 v[34:35], v6 offset0:160 offset1:176
	;; [unrolled: 1-line block ×5, first 2 shown]
	v_add3_u32 v11, 0, v42, v38
	ds_read2_b32 v[41:42], v6 offset0:128 offset1:144
	ds_read2_b32 v[49:50], v10 offset0:64 offset1:80
	;; [unrolled: 1-line block ×3, first 2 shown]
	ds_read2_b32 v[53:54], v10 offset1:16
	global_load_dword v38, v18, s[8:9] offset:296
	v_lshlrev_b32_e32 v99, 2, v28
	global_load_dwordx4 v[16:19], v[20:21], off offset:280
	ds_read2_b32 v[55:56], v10 offset0:160 offset1:176
	ds_read2_b32 v[57:58], v10 offset0:96 offset1:112
	ds_read_b32 v63, v36
	ds_read_b32 v64, v40
	;; [unrolled: 1-line block ×4, first 2 shown]
	ds_read2_b32 v[59:60], v10 offset0:32 offset1:48
	ds_read2_b32 v[61:62], v10 offset0:192 offset1:208
	global_load_dword v67, v[20:21], off offset:296
	global_load_dword v83, v[24:25], off offset:296
	global_load_dwordx4 v[28:31], v99, s[8:9] offset:280
	s_waitcnt lgkmcnt(14)
	v_lshrrev_b32_e32 v69, 16, v33
	global_load_dwordx4 v[20:23], v[24:25], off offset:280
	v_lshrrev_b32_e32 v70, 16, v34
	global_load_dwordx4 v[24:27], v[8:9], off offset:280
	s_waitcnt lgkmcnt(11)
	v_lshrrev_b32_e32 v78, 16, v41
	global_load_dword v8, v[8:9], off offset:296
	v_lshrrev_b32_e32 v79, 16, v48
	s_waitcnt lgkmcnt(1)
	v_lshrrev_b32_e32 v93, 16, v59
	v_lshrrev_b32_e32 v94, 16, v58
	s_waitcnt lgkmcnt(0)
	v_lshrrev_b32_e32 v95, 16, v61
	v_lshrrev_b32_e32 v81, 16, v42
	;; [unrolled: 1-line block ×11, first 2 shown]
	s_mov_b32 s1, 0xbaee
	s_movk_i32 s0, 0x3aee
	v_lshrrev_b32_e32 v74, 16, v35
	v_lshrrev_b32_e32 v86, 16, v53
	v_lshrrev_b32_e32 v87, 16, v50
	v_lshrrev_b32_e32 v88, 16, v55
	v_lshrrev_b32_e32 v76, 16, v46
	v_lshrrev_b32_e32 v72, 16, v64
	v_lshrrev_b32_e32 v77, 16, v47
	v_lshrrev_b32_e32 v89, 16, v54
	v_lshrrev_b32_e32 v90, 16, v57
	v_lshrrev_b32_e32 v91, 16, v56
	v_lshrrev_b32_e32 v75, 16, v65
	v_lshrrev_b32_e32 v92, 16, v66
	v_lshrrev_b32_e32 v80, 16, v32
	s_waitcnt vmcnt(8)
	v_mul_f16_sdwa v9, v69, v12 dst_sel:DWORD dst_unused:UNUSED_PAD src0_sel:DWORD src1_sel:WORD_1
	v_fma_f16 v9, v33, v12, v9
	v_mul_f16_sdwa v33, v33, v12 dst_sel:DWORD dst_unused:UNUSED_PAD src0_sel:DWORD src1_sel:WORD_1
	v_fma_f16 v12, v69, v12, -v33
	global_load_dword v69, v99, s[8:9] offset:296
	v_mul_f16_sdwa v33, v70, v13 dst_sel:DWORD dst_unused:UNUSED_PAD src0_sel:DWORD src1_sel:WORD_1
	v_fma_f16 v33, v34, v13, v33
	v_mul_f16_sdwa v34, v34, v13 dst_sel:DWORD dst_unused:UNUSED_PAD src0_sel:DWORD src1_sel:WORD_1
	v_fma_f16 v13, v70, v13, -v34
	v_mul_f16_sdwa v34, v71, v14 dst_sel:DWORD dst_unused:UNUSED_PAD src0_sel:DWORD src1_sel:WORD_1
	v_fma_f16 v34, v44, v14, v34
	v_mul_f16_sdwa v44, v44, v14 dst_sel:DWORD dst_unused:UNUSED_PAD src0_sel:DWORD src1_sel:WORD_1
	v_fma_f16 v14, v71, v14, -v44
	;; [unrolled: 4-line block ×3, first 2 shown]
	v_add_f16_e32 v71, v33, v44
	s_waitcnt lgkmcnt(0)
	; wave barrier
	s_waitcnt vmcnt(8)
	v_mul_f16_sdwa v49, v85, v38 dst_sel:DWORD dst_unused:UNUSED_PAD src0_sel:DWORD src1_sel:WORD_1
	v_fma_f16 v49, v52, v38, v49
	v_mul_f16_sdwa v52, v52, v38 dst_sel:DWORD dst_unused:UNUSED_PAD src0_sel:DWORD src1_sel:WORD_1
	v_fma_f16 v38, v85, v38, -v52
	s_waitcnt vmcnt(7)
	v_mul_f16_sdwa v52, v73, v16 dst_sel:DWORD dst_unused:UNUSED_PAD src0_sel:DWORD src1_sel:WORD_1
	v_fma_f16 v52, v45, v16, v52
	v_mul_f16_sdwa v45, v45, v16 dst_sel:DWORD dst_unused:UNUSED_PAD src0_sel:DWORD src1_sel:WORD_1
	v_fma_f16 v16, v73, v16, -v45
	v_mul_f16_sdwa v45, v74, v17 dst_sel:DWORD dst_unused:UNUSED_PAD src0_sel:DWORD src1_sel:WORD_1
	v_fma_f16 v45, v35, v17, v45
	s_waitcnt vmcnt(2)
	v_mul_f16_sdwa v70, v78, v24 dst_sel:DWORD dst_unused:UNUSED_PAD src0_sel:DWORD src1_sel:WORD_1
	v_fma_f16 v70, v41, v24, v70
	v_mul_f16_sdwa v41, v41, v24 dst_sel:DWORD dst_unused:UNUSED_PAD src0_sel:DWORD src1_sel:WORD_1
	v_fma_f16 v24, v78, v24, -v41
	v_mul_f16_sdwa v41, v79, v25 dst_sel:DWORD dst_unused:UNUSED_PAD src0_sel:DWORD src1_sel:WORD_1
	v_fma_f16 v41, v48, v25, v41
	v_mul_f16_sdwa v48, v48, v25 dst_sel:DWORD dst_unused:UNUSED_PAD src0_sel:DWORD src1_sel:WORD_1
	v_fma_f16 v25, v79, v25, -v48
	;; [unrolled: 4-line block ×4, first 2 shown]
	s_waitcnt vmcnt(1)
	v_mul_f16_sdwa v58, v95, v8 dst_sel:DWORD dst_unused:UNUSED_PAD src0_sel:DWORD src1_sel:WORD_1
	v_fma_f16 v58, v61, v8, v58
	v_mul_f16_sdwa v61, v61, v8 dst_sel:DWORD dst_unused:UNUSED_PAD src0_sel:DWORD src1_sel:WORD_1
	v_fma_f16 v8, v95, v8, -v61
	v_mul_f16_sdwa v61, v81, v28 dst_sel:DWORD dst_unused:UNUSED_PAD src0_sel:DWORD src1_sel:WORD_1
	v_fma_f16 v61, v42, v28, v61
	v_mul_f16_sdwa v42, v42, v28 dst_sel:DWORD dst_unused:UNUSED_PAD src0_sel:DWORD src1_sel:WORD_1
	v_fma_f16 v28, v81, v28, -v42
	;; [unrolled: 4-line block ×5, first 2 shown]
	v_mul_f16_sdwa v35, v35, v17 dst_sel:DWORD dst_unused:UNUSED_PAD src0_sel:DWORD src1_sel:WORD_1
	v_fma_f16 v17, v74, v17, -v35
	v_mul_f16_sdwa v35, v86, v18 dst_sel:DWORD dst_unused:UNUSED_PAD src0_sel:DWORD src1_sel:WORD_1
	v_fma_f16 v35, v53, v18, v35
	v_mul_f16_sdwa v53, v53, v18 dst_sel:DWORD dst_unused:UNUSED_PAD src0_sel:DWORD src1_sel:WORD_1
	v_fma_f16 v18, v86, v18, -v53
	v_mul_f16_sdwa v53, v87, v19 dst_sel:DWORD dst_unused:UNUSED_PAD src0_sel:DWORD src1_sel:WORD_1
	v_fma_f16 v53, v50, v19, v53
	v_mul_f16_sdwa v50, v50, v19 dst_sel:DWORD dst_unused:UNUSED_PAD src0_sel:DWORD src1_sel:WORD_1
	v_fma_f16 v19, v87, v19, -v50
	s_waitcnt vmcnt(0)
	v_mul_f16_sdwa v51, v98, v69 dst_sel:DWORD dst_unused:UNUSED_PAD src0_sel:DWORD src1_sel:WORD_1
	v_fma_f16 v51, v62, v69, v51
	v_mul_f16_sdwa v62, v62, v69 dst_sel:DWORD dst_unused:UNUSED_PAD src0_sel:DWORD src1_sel:WORD_1
	v_fma_f16 v62, v98, v69, -v62
	v_add_f16_e32 v69, v63, v33
	v_fma_f16 v63, v71, -0.5, v63
	v_sub_f16_e32 v71, v13, v15
	v_fma_f16 v73, v71, s1, v63
	v_fma_f16 v63, v71, s0, v63
	v_add_f16_e32 v71, v68, v13
	v_add_f16_e32 v13, v13, v15
	;; [unrolled: 1-line block ×4, first 2 shown]
	v_fma_f16 v13, v13, -0.5, v68
	v_sub_f16_e32 v15, v33, v44
	v_add_f16_e32 v44, v34, v49
	v_fma_f16 v33, v15, s0, v13
	v_fma_f16 v13, v15, s1, v13
	v_add_f16_e32 v15, v9, v34
	v_fma_f16 v9, v44, -0.5, v9
	v_sub_f16_e32 v44, v14, v38
	v_fma_f16 v68, v44, s1, v9
	v_fma_f16 v9, v44, s0, v9
	v_add_f16_e32 v44, v12, v14
	v_add_f16_e32 v14, v14, v38
	v_fma_f16 v12, v14, -0.5, v12
	v_sub_f16_e32 v14, v34, v49
	v_fma_f16 v34, v14, s0, v12
	v_add_f16_e32 v44, v44, v38
	v_fma_f16 v12, v14, s1, v12
	v_mul_f16_e32 v38, 0xbaee, v34
	v_mul_f16_e32 v34, 0.5, v34
	v_mul_f16_sdwa v50, v88, v67 dst_sel:DWORD dst_unused:UNUSED_PAD src0_sel:DWORD src1_sel:WORD_1
	v_mul_f16_e32 v74, 0xbaee, v12
	v_fma_f16 v34, v68, s0, v34
	v_mul_f16_e32 v12, -0.5, v12
	v_fma_f16 v50, v55, v67, v50
	v_mul_f16_sdwa v55, v55, v67 dst_sel:DWORD dst_unused:UNUSED_PAD src0_sel:DWORD src1_sel:WORD_1
	v_fma_f16 v38, v68, 0.5, v38
	v_fma_f16 v74, v9, -0.5, v74
	v_add_f16_e32 v68, v33, v34
	v_fma_f16 v9, v9, s0, v12
	v_sub_f16_e32 v33, v33, v34
	v_add_f16_e32 v34, v45, v53
	v_fma_f16 v55, v88, v67, -v55
	v_mul_f16_sdwa v67, v76, v20 dst_sel:DWORD dst_unused:UNUSED_PAD src0_sel:DWORD src1_sel:WORD_1
	v_add_f16_e32 v15, v15, v49
	v_add_f16_e32 v12, v13, v9
	v_sub_f16_e32 v9, v13, v9
	v_add_f16_e32 v13, v64, v45
	v_fma_f16 v34, v34, -0.5, v64
	v_sub_f16_e32 v64, v17, v19
	v_fma_f16 v67, v46, v20, v67
	v_mul_f16_sdwa v46, v46, v20 dst_sel:DWORD dst_unused:UNUSED_PAD src0_sel:DWORD src1_sel:WORD_1
	v_add_f16_e32 v14, v69, v15
	v_sub_f16_e32 v15, v69, v15
	v_fma_f16 v69, v64, s1, v34
	v_fma_f16 v34, v64, s0, v34
	v_add_f16_e32 v64, v72, v17
	v_add_f16_e32 v17, v17, v19
	v_fma_f16 v20, v76, v20, -v46
	v_mul_f16_sdwa v46, v77, v21 dst_sel:DWORD dst_unused:UNUSED_PAD src0_sel:DWORD src1_sel:WORD_1
	v_add_f16_e32 v13, v13, v53
	v_add_f16_e32 v64, v64, v19
	v_fma_f16 v17, v17, -0.5, v72
	v_sub_f16_e32 v19, v45, v53
	v_add_f16_e32 v53, v35, v50
	v_fma_f16 v46, v47, v21, v46
	v_mul_f16_sdwa v47, v47, v21 dst_sel:DWORD dst_unused:UNUSED_PAD src0_sel:DWORD src1_sel:WORD_1
	v_fma_f16 v45, v19, s0, v17
	v_fma_f16 v17, v19, s1, v17
	v_add_f16_e32 v19, v52, v35
	v_fma_f16 v52, v53, -0.5, v52
	v_sub_f16_e32 v53, v18, v55
	v_fma_f16 v21, v77, v21, -v47
	v_add_f16_e32 v77, v71, v44
	v_sub_f16_e32 v44, v71, v44
	v_fma_f16 v71, v53, s1, v52
	v_fma_f16 v52, v53, s0, v52
	v_add_f16_e32 v53, v16, v18
	v_add_f16_e32 v18, v18, v55
	v_mul_f16_sdwa v47, v89, v22 dst_sel:DWORD dst_unused:UNUSED_PAD src0_sel:DWORD src1_sel:WORD_1
	v_fma_f16 v16, v18, -0.5, v16
	v_sub_f16_e32 v18, v35, v50
	v_fma_f16 v47, v54, v22, v47
	v_mul_f16_sdwa v54, v54, v22 dst_sel:DWORD dst_unused:UNUSED_PAD src0_sel:DWORD src1_sel:WORD_1
	v_fma_f16 v35, v18, s0, v16
	v_fma_f16 v22, v89, v22, -v54
	v_mul_f16_sdwa v54, v90, v23 dst_sel:DWORD dst_unused:UNUSED_PAD src0_sel:DWORD src1_sel:WORD_1
	v_add_f16_e32 v19, v19, v50
	v_mul_f16_e32 v50, 0xbaee, v35
	v_mul_f16_e32 v35, 0.5, v35
	v_fma_f16 v54, v57, v23, v54
	v_mul_f16_sdwa v57, v57, v23 dst_sel:DWORD dst_unused:UNUSED_PAD src0_sel:DWORD src1_sel:WORD_1
	v_fma_f16 v16, v18, s1, v16
	v_fma_f16 v35, v71, s0, v35
	v_fma_f16 v23, v90, v23, -v57
	v_add_f16_e32 v53, v53, v55
	v_fma_f16 v50, v71, 0.5, v50
	v_mul_f16_e32 v72, 0xbaee, v16
	v_add_f16_e32 v71, v45, v35
	v_mul_f16_e32 v16, -0.5, v16
	v_sub_f16_e32 v35, v45, v35
	v_add_f16_e32 v45, v46, v54
	v_mul_f16_sdwa v57, v91, v83 dst_sel:DWORD dst_unused:UNUSED_PAD src0_sel:DWORD src1_sel:WORD_1
	v_add_f16_e32 v76, v63, v74
	v_sub_f16_e32 v63, v63, v74
	v_add_f16_e32 v18, v13, v19
	v_add_f16_e32 v55, v69, v50
	;; [unrolled: 1-line block ×3, first 2 shown]
	v_fma_f16 v16, v52, s0, v16
	v_sub_f16_e32 v13, v13, v19
	v_sub_f16_e32 v19, v69, v50
	;; [unrolled: 1-line block ×3, first 2 shown]
	v_fma_f16 v45, v45, -0.5, v65
	v_sub_f16_e32 v53, v21, v23
	v_fma_f16 v57, v56, v83, v57
	v_mul_f16_sdwa v56, v56, v83 dst_sel:DWORD dst_unused:UNUSED_PAD src0_sel:DWORD src1_sel:WORD_1
	v_fma_f16 v72, v52, -0.5, v72
	v_add_f16_e32 v52, v17, v16
	v_sub_f16_e32 v16, v17, v16
	v_add_f16_e32 v17, v65, v46
	v_fma_f16 v64, v53, s1, v45
	v_fma_f16 v45, v53, s0, v45
	v_add_f16_e32 v53, v75, v21
	v_fma_f16 v56, v91, v83, -v56
	v_add_f16_e32 v17, v17, v54
	v_add_f16_e32 v53, v53, v23
	;; [unrolled: 1-line block ×3, first 2 shown]
	v_sub_f16_e32 v23, v46, v54
	v_add_f16_e32 v54, v47, v57
	v_fma_f16 v21, v21, -0.5, v75
	v_fma_f16 v54, v54, -0.5, v67
	v_sub_f16_e32 v65, v22, v56
	v_fma_f16 v46, v23, s0, v21
	v_fma_f16 v21, v23, s1, v21
	v_add_f16_e32 v23, v67, v47
	v_fma_f16 v67, v65, s1, v54
	v_fma_f16 v54, v65, s0, v54
	v_add_f16_e32 v65, v20, v22
	v_add_f16_e32 v22, v22, v56
	v_fma_f16 v20, v22, -0.5, v20
	v_sub_f16_e32 v22, v47, v57
	v_fma_f16 v47, v22, s0, v20
	v_add_f16_e32 v65, v65, v56
	v_mul_f16_e32 v56, 0xbaee, v47
	v_mul_f16_e32 v47, 0.5, v47
	v_fma_f16 v20, v22, s1, v20
	v_fma_f16 v47, v67, s0, v47
	v_add_f16_e32 v23, v23, v57
	v_fma_f16 v56, v67, 0.5, v56
	v_mul_f16_e32 v69, 0xbaee, v20
	v_add_f16_e32 v67, v46, v47
	v_mul_f16_e32 v20, -0.5, v20
	v_sub_f16_e32 v46, v46, v47
	v_add_f16_e32 v47, v41, v59
	v_add_f16_e32 v22, v17, v23
	;; [unrolled: 1-line block ×3, first 2 shown]
	v_fma_f16 v20, v54, s0, v20
	v_sub_f16_e32 v17, v17, v23
	v_sub_f16_e32 v23, v64, v56
	v_fma_f16 v47, v47, -0.5, v66
	v_sub_f16_e32 v56, v25, v27
	v_fma_f16 v69, v54, -0.5, v69
	v_add_f16_e32 v54, v21, v20
	v_sub_f16_e32 v20, v21, v20
	v_add_f16_e32 v21, v66, v41
	v_fma_f16 v64, v56, s1, v47
	v_fma_f16 v47, v56, s0, v47
	v_add_f16_e32 v56, v92, v25
	v_add_f16_e32 v21, v21, v59
	;; [unrolled: 1-line block ×4, first 2 shown]
	v_sub_f16_e32 v27, v41, v59
	v_add_f16_e32 v59, v48, v58
	v_add_f16_e32 v75, v53, v65
	v_sub_f16_e32 v53, v53, v65
	v_fma_f16 v59, v59, -0.5, v70
	v_sub_f16_e32 v65, v26, v8
	v_fma_f16 v66, v65, s1, v59
	v_fma_f16 v59, v65, s0, v59
	v_add_f16_e32 v65, v24, v26
	v_add_f16_e32 v65, v65, v8
	v_add_f16_e32 v8, v26, v8
	v_fma_f16 v8, v8, -0.5, v24
	v_sub_f16_e32 v24, v48, v58
	v_fma_f16 v25, v25, -0.5, v92
	v_fma_f16 v26, v24, s0, v8
	v_add_f16_e32 v49, v73, v38
	v_fma_f16 v41, v27, s0, v25
	v_fma_f16 v25, v27, s1, v25
	v_add_f16_e32 v27, v70, v48
	v_fma_f16 v8, v24, s1, v8
	v_mul_f16_e32 v48, 0xbaee, v26
	v_mul_f16_e32 v26, 0.5, v26
	v_pack_b32_f16 v14, v14, v77
	v_sub_f16_e32 v38, v73, v38
	v_add_f16_e32 v73, v34, v72
	v_sub_f16_e32 v34, v34, v72
	v_add_f16_e32 v72, v45, v69
	v_sub_f16_e32 v45, v45, v69
	v_mul_f16_e32 v69, 0xbaee, v8
	v_fma_f16 v26, v66, s0, v26
	v_mul_f16_e32 v8, -0.5, v8
	ds_write_b32 v6, v14
	v_pack_b32_f16 v14, v49, v68
	v_pack_b32_f16 v12, v76, v12
	v_fma_f16 v48, v66, 0.5, v48
	v_add_f16_e32 v66, v41, v26
	v_fma_f16 v8, v59, s0, v8
	v_sub_f16_e32 v26, v41, v26
	v_add_f16_e32 v41, v42, v60
	ds_write2_b32 v6, v14, v12 offset0:80 offset1:160
	v_pack_b32_f16 v12, v15, v44
	v_pack_b32_f16 v14, v38, v33
	v_add_u32_e32 v15, 0x200, v6
	v_pack_b32_f16 v9, v63, v9
	v_add_f16_e32 v27, v27, v58
	v_fma_f16 v69, v59, -0.5, v69
	v_add_f16_e32 v59, v25, v8
	v_sub_f16_e32 v8, v25, v8
	v_add_f16_e32 v25, v32, v42
	v_fma_f16 v32, v41, -0.5, v32
	v_sub_f16_e32 v41, v29, v31
	ds_write2_b32 v15, v12, v14 offset0:112 offset1:192
	ds_write_b32 v6, v9 offset:1600
	v_pack_b32_f16 v9, v18, v74
	v_pack_b32_f16 v12, v55, v71
	v_add_f16_e32 v24, v21, v27
	v_add_f16_e32 v58, v64, v48
	;; [unrolled: 1-line block ×3, first 2 shown]
	v_sub_f16_e32 v21, v21, v27
	v_sub_f16_e32 v27, v64, v48
	;; [unrolled: 1-line block ×3, first 2 shown]
	v_fma_f16 v56, v41, s1, v32
	v_fma_f16 v32, v41, s0, v32
	v_add_f16_e32 v41, v80, v29
	v_add_f16_e32 v29, v29, v31
	ds_write2_b32 v40, v9, v12 offset1:80
	v_pack_b32_f16 v9, v73, v52
	v_pack_b32_f16 v12, v13, v50
	v_add_f16_e32 v25, v25, v60
	v_add_f16_e32 v41, v41, v31
	v_fma_f16 v29, v29, -0.5, v80
	v_sub_f16_e32 v31, v42, v60
	v_add_f16_e32 v60, v43, v51
	ds_write2_b32 v40, v9, v12 offset0:160 offset1:240
	v_pack_b32_f16 v9, v19, v35
	v_pack_b32_f16 v12, v34, v16
	v_add_u32_e32 v13, 0x400, v40
	v_fma_f16 v42, v31, s0, v29
	v_fma_f16 v29, v31, s1, v29
	v_add_f16_e32 v31, v61, v43
	v_fma_f16 v60, v60, -0.5, v61
	v_sub_f16_e32 v61, v30, v62
	ds_write2_b32 v13, v9, v12 offset0:64 offset1:144
	v_pack_b32_f16 v9, v22, v75
	v_pack_b32_f16 v12, v57, v67
	v_fma_f16 v64, v61, s1, v60
	v_fma_f16 v60, v61, s0, v60
	v_add_f16_e32 v61, v28, v30
	v_add_f16_e32 v30, v30, v62
	ds_write2_b32 v39, v9, v12 offset1:80
	v_pack_b32_f16 v9, v72, v54
	v_pack_b32_f16 v12, v17, v53
	v_fma_f16 v28, v30, -0.5, v28
	v_sub_f16_e32 v30, v43, v51
	ds_write2_b32 v39, v9, v12 offset0:160 offset1:240
	v_pack_b32_f16 v9, v23, v46
	v_pack_b32_f16 v12, v45, v20
	v_add_u32_e32 v13, 0x400, v39
	v_add_f16_e32 v70, v47, v69
	v_fma_f16 v43, v30, s0, v28
	v_fma_f16 v28, v30, s1, v28
	ds_write2_b32 v13, v9, v12 offset0:64 offset1:144
	v_pack_b32_f16 v9, v24, v78
	v_pack_b32_f16 v12, v58, v66
	v_sub_f16_e32 v47, v47, v69
	v_add_f16_e32 v31, v31, v51
	v_add_f16_e32 v61, v61, v62
	v_mul_f16_e32 v51, 0xbaee, v43
	v_mul_f16_e32 v65, 0xbaee, v28
	v_mul_f16_e32 v43, 0.5, v43
	v_mul_f16_e32 v28, -0.5, v28
	ds_write2_b32 v11, v9, v12 offset1:80
	v_pack_b32_f16 v9, v70, v59
	v_pack_b32_f16 v12, v21, v48
	v_add_f16_e32 v30, v25, v31
	v_fma_f16 v51, v64, 0.5, v51
	v_fma_f16 v65, v60, -0.5, v65
	v_add_f16_e32 v79, v41, v61
	v_fma_f16 v43, v64, s0, v43
	v_fma_f16 v28, v60, s0, v28
	ds_write2_b32 v11, v9, v12 offset0:160 offset1:240
	v_pack_b32_f16 v9, v27, v26
	v_pack_b32_f16 v8, v47, v8
	v_add_u32_e32 v11, 0x400, v11
	v_add_f16_e32 v62, v56, v51
	v_add_f16_e32 v69, v32, v65
	;; [unrolled: 1-line block ×4, first 2 shown]
	ds_write2_b32 v11, v9, v8 offset0:64 offset1:144
	v_pack_b32_f16 v8, v30, v79
	v_sub_f16_e32 v25, v25, v31
	v_sub_f16_e32 v31, v56, v51
	v_sub_f16_e32 v41, v41, v61
	v_sub_f16_e32 v42, v42, v43
	ds_write_b32 v6, v8 offset:256
	v_pack_b32_f16 v8, v62, v64
	v_pack_b32_f16 v9, v69, v60
	v_sub_f16_e32 v32, v32, v65
	v_sub_f16_e32 v28, v29, v28
	ds_write2_b32 v6, v8, v9 offset0:144 offset1:224
	v_pack_b32_f16 v8, v25, v41
	v_pack_b32_f16 v9, v31, v42
	ds_write2_b32 v10, v8, v9 offset0:48 offset1:128
	v_pack_b32_f16 v8, v32, v28
	ds_write_b32 v6, v8 offset:1856
	s_waitcnt lgkmcnt(0)
	; wave barrier
	s_waitcnt lgkmcnt(0)
	ds_read_b32 v6, v36
	v_sub_u32_e32 v11, v37, v1
	v_cmp_ne_u32_e64 s[0:1], 0, v0
                                        ; implicit-def: $vgpr13
                                        ; implicit-def: $vgpr12
                                        ; implicit-def: $vgpr14
                                        ; implicit-def: $vgpr9_vgpr10
	s_and_saveexec_b64 s[2:3], s[0:1]
	s_xor_b64 s[0:1], exec, s[2:3]
	s_cbranch_execz .LBB0_19
; %bb.18:
	global_load_dword v8, v1, s[8:9] offset:1880
	ds_read_b32 v9, v11 offset:1920
	v_mov_b32_e32 v1, 0
	s_waitcnt lgkmcnt(0)
	v_add_f16_sdwa v12, v9, v6 dst_sel:DWORD dst_unused:UNUSED_PAD src0_sel:WORD_1 src1_sel:WORD_1
	v_sub_f16_e32 v13, v6, v9
	v_add_f16_e32 v10, v9, v6
	v_sub_f16_sdwa v6, v6, v9 dst_sel:DWORD dst_unused:UNUSED_PAD src0_sel:WORD_1 src1_sel:WORD_1
	v_mul_f16_e32 v9, 0.5, v12
	v_mul_f16_e32 v12, 0.5, v13
	;; [unrolled: 1-line block ×3, first 2 shown]
	s_waitcnt vmcnt(0)
	v_lshrrev_b32_e32 v13, 16, v8
	v_mul_f16_e32 v15, v13, v12
	v_fma_f16 v14, v9, v13, v6
	v_fma_f16 v6, v9, v13, -v6
	v_fma_f16 v16, v10, 0.5, v15
	v_fma_f16 v10, v10, 0.5, -v15
	v_fma_f16 v14, -v8, v12, v14
	v_fma_f16 v13, -v8, v12, v6
	v_fma_f16 v6, v8, v9, v16
	v_fma_f16 v12, -v8, v9, v10
	v_mov_b32_e32 v10, v1
	ds_write_b16 v36, v6
	v_mov_b32_e32 v9, v0
                                        ; implicit-def: $vgpr6
.LBB0_19:
	s_andn2_saveexec_b64 s[0:1], s[0:1]
	s_cbranch_execz .LBB0_21
; %bb.20:
	ds_read_u16 v1, v37 offset:962
	v_mov_b32_e32 v9, 0
	s_waitcnt lgkmcnt(1)
	v_add_f16_sdwa v8, v6, v6 dst_sel:DWORD dst_unused:UNUSED_PAD src0_sel:WORD_1 src1_sel:DWORD
	v_sub_f16_sdwa v12, v6, v6 dst_sel:DWORD dst_unused:UNUSED_PAD src0_sel:DWORD src1_sel:WORD_1
	v_mov_b32_e32 v10, 0
	s_waitcnt lgkmcnt(0)
	v_xor_b32_e32 v1, 0x8000, v1
	v_mov_b32_e32 v14, 0
	v_mov_b32_e32 v13, 0
	ds_write_b16 v36, v8
	ds_write_b16 v37, v1 offset:962
.LBB0_21:
	s_or_b64 exec, exec, s[0:1]
	s_waitcnt lgkmcnt(0)
	v_mov_b32_e32 v6, 0
	v_lshlrev_b64 v[15:16], 2, v[5:6]
	v_mov_b32_e32 v1, s9
	v_add_co_u32_e64 v15, s[0:1], s8, v15
	v_addc_co_u32_e64 v16, s[0:1], v1, v16, s[0:1]
	global_load_dword v1, v[15:16], off offset:1880
	v_mov_b32_e32 v8, v6
	v_lshlrev_b64 v[7:8], 2, v[7:8]
	v_mov_b32_e32 v5, s9
	v_add_co_u32_e64 v7, s[0:1], s8, v7
	v_addc_co_u32_e64 v8, s[0:1], v5, v8, s[0:1]
	global_load_dword v15, v[7:8], off offset:1880
	v_mov_b32_e32 v5, v6
	v_lshlrev_b64 v[5:6], 2, v[4:5]
	v_mov_b32_e32 v7, s9
	v_add_co_u32_e64 v5, s[0:1], s8, v5
	v_addc_co_u32_e64 v6, s[0:1], v7, v6, s[0:1]
	global_load_dword v16, v[5:6], off offset:1880
	s_add_u32 s0, s8, 0x758
	s_mov_b32 s1, 0x5040100
	v_lshlrev_b64 v[5:6], 2, v[9:10]
	s_addc_u32 s3, s9, 0
	v_perm_b32 v7, v13, v12, s1
	ds_write_b16 v36, v14 offset:2
	ds_write_b32 v11, v7 offset:1920
	v_mov_b32_e32 v8, s3
	v_add_co_u32_e64 v7, s[0:1], s0, v5
	v_addc_co_u32_e64 v8, s[0:1], v8, v6, s[0:1]
	ds_read_b32 v9, v40
	ds_read_b32 v10, v11 offset:1856
	global_load_dword v12, v[7:8], off offset:256
	global_load_dword v13, v[7:8], off offset:320
	;; [unrolled: 1-line block ×5, first 2 shown]
	s_mov_b32 s2, 0xffff
	v_lshl_add_u32 v4, v4, 2, v37
	s_waitcnt lgkmcnt(0)
	v_pk_add_f16 v19, v9, v10 neg_lo:[0,1] neg_hi:[0,1]
	v_pk_add_f16 v9, v9, v10
	v_bfi_b32 v10, s2, v19, v9
	v_bfi_b32 v9, s2, v9, v19
	v_pk_mul_f16 v10, v10, 0.5 op_sel_hi:[1,0]
	v_pk_mul_f16 v9, v9, 0.5 op_sel_hi:[1,0]
	s_waitcnt vmcnt(7)
	v_pk_fma_f16 v19, v1, v10, v9 op_sel:[1,0,0]
	v_pk_mul_f16 v20, v1, v10 op_sel_hi:[0,1]
	v_pk_fma_f16 v21, v1, v10, v9 op_sel:[1,0,0] neg_lo:[1,0,0] neg_hi:[1,0,0]
	v_pk_fma_f16 v1, v1, v10, v9 op_sel:[1,0,0] neg_lo:[0,0,1] neg_hi:[0,0,1]
	v_pk_add_f16 v9, v19, v20 op_sel:[0,1] op_sel_hi:[1,0]
	v_pk_add_f16 v10, v19, v20 op_sel:[0,1] op_sel_hi:[1,0] neg_lo:[0,1] neg_hi:[0,1]
	v_pk_add_f16 v19, v21, v20 op_sel:[0,1] op_sel_hi:[1,0] neg_lo:[0,1] neg_hi:[0,1]
	;; [unrolled: 1-line block ×3, first 2 shown]
	v_bfi_b32 v9, s2, v9, v10
	v_bfi_b32 v1, s2, v19, v1
	ds_write_b32 v40, v9
	ds_write_b32 v11, v1 offset:1856
	ds_read_b32 v1, v39
	ds_read_b32 v9, v11 offset:1792
	s_waitcnt lgkmcnt(0)
	v_pk_add_f16 v10, v1, v9 neg_lo:[0,1] neg_hi:[0,1]
	v_pk_add_f16 v1, v1, v9
	v_bfi_b32 v9, s2, v10, v1
	v_bfi_b32 v1, s2, v1, v10
	v_pk_mul_f16 v9, v9, 0.5 op_sel_hi:[1,0]
	v_pk_mul_f16 v1, v1, 0.5 op_sel_hi:[1,0]
	s_waitcnt vmcnt(6)
	v_pk_fma_f16 v10, v15, v9, v1 op_sel:[1,0,0]
	v_pk_mul_f16 v19, v15, v9 op_sel_hi:[0,1]
	v_pk_fma_f16 v20, v15, v9, v1 op_sel:[1,0,0] neg_lo:[1,0,0] neg_hi:[1,0,0]
	v_pk_fma_f16 v1, v15, v9, v1 op_sel:[1,0,0] neg_lo:[0,0,1] neg_hi:[0,0,1]
	v_pk_add_f16 v9, v10, v19 op_sel:[0,1] op_sel_hi:[1,0]
	v_pk_add_f16 v10, v10, v19 op_sel:[0,1] op_sel_hi:[1,0] neg_lo:[0,1] neg_hi:[0,1]
	v_pk_add_f16 v15, v20, v19 op_sel:[0,1] op_sel_hi:[1,0] neg_lo:[0,1] neg_hi:[0,1]
	v_pk_add_f16 v1, v1, v19 op_sel:[0,1] op_sel_hi:[1,0] neg_lo:[0,1] neg_hi:[0,1]
	v_bfi_b32 v9, s2, v9, v10
	v_bfi_b32 v1, s2, v15, v1
	ds_write_b32 v39, v9
	ds_write_b32 v11, v1 offset:1792
	ds_read_b32 v1, v4
	ds_read_b32 v9, v11 offset:1728
	s_waitcnt lgkmcnt(0)
	v_pk_add_f16 v10, v1, v9 neg_lo:[0,1] neg_hi:[0,1]
	v_pk_add_f16 v1, v1, v9
	v_bfi_b32 v9, s2, v10, v1
	v_bfi_b32 v1, s2, v1, v10
	v_pk_mul_f16 v9, v9, 0.5 op_sel_hi:[1,0]
	v_pk_mul_f16 v1, v1, 0.5 op_sel_hi:[1,0]
	s_waitcnt vmcnt(5)
	v_pk_fma_f16 v10, v16, v9, v1 op_sel:[1,0,0]
	v_pk_mul_f16 v15, v16, v9 op_sel_hi:[0,1]
	v_pk_fma_f16 v19, v16, v9, v1 op_sel:[1,0,0] neg_lo:[1,0,0] neg_hi:[1,0,0]
	v_pk_fma_f16 v1, v16, v9, v1 op_sel:[1,0,0] neg_lo:[0,0,1] neg_hi:[0,0,1]
	v_pk_add_f16 v9, v10, v15 op_sel:[0,1] op_sel_hi:[1,0]
	v_pk_add_f16 v10, v10, v15 op_sel:[0,1] op_sel_hi:[1,0] neg_lo:[0,1] neg_hi:[0,1]
	v_pk_add_f16 v16, v19, v15 op_sel:[0,1] op_sel_hi:[1,0] neg_lo:[0,1] neg_hi:[0,1]
	;; [unrolled: 1-line block ×3, first 2 shown]
	v_bfi_b32 v9, s2, v9, v10
	v_bfi_b32 v1, s2, v16, v1
	ds_write_b32 v4, v9
	ds_write_b32 v11, v1 offset:1728
	ds_read_b32 v1, v36 offset:256
	ds_read_b32 v4, v11 offset:1664
	s_waitcnt lgkmcnt(0)
	v_pk_add_f16 v9, v1, v4 neg_lo:[0,1] neg_hi:[0,1]
	v_pk_add_f16 v1, v1, v4
	v_bfi_b32 v4, s2, v9, v1
	v_bfi_b32 v1, s2, v1, v9
	v_pk_mul_f16 v4, v4, 0.5 op_sel_hi:[1,0]
	v_pk_mul_f16 v1, v1, 0.5 op_sel_hi:[1,0]
	s_waitcnt vmcnt(4)
	v_pk_fma_f16 v9, v12, v4, v1 op_sel:[1,0,0]
	v_pk_mul_f16 v10, v12, v4 op_sel_hi:[0,1]
	v_pk_fma_f16 v15, v12, v4, v1 op_sel:[1,0,0] neg_lo:[1,0,0] neg_hi:[1,0,0]
	v_pk_fma_f16 v1, v12, v4, v1 op_sel:[1,0,0] neg_lo:[0,0,1] neg_hi:[0,0,1]
	v_pk_add_f16 v4, v9, v10 op_sel:[0,1] op_sel_hi:[1,0]
	v_pk_add_f16 v9, v9, v10 op_sel:[0,1] op_sel_hi:[1,0] neg_lo:[0,1] neg_hi:[0,1]
	v_pk_add_f16 v12, v15, v10 op_sel:[0,1] op_sel_hi:[1,0] neg_lo:[0,1] neg_hi:[0,1]
	;; [unrolled: 1-line block ×3, first 2 shown]
	v_bfi_b32 v4, s2, v4, v9
	v_bfi_b32 v1, s2, v12, v1
	ds_write_b32 v36, v4 offset:256
	ds_write_b32 v11, v1 offset:1664
	ds_read_b32 v1, v36 offset:320
	ds_read_b32 v4, v11 offset:1600
	s_waitcnt lgkmcnt(0)
	v_pk_add_f16 v9, v1, v4 neg_lo:[0,1] neg_hi:[0,1]
	v_pk_add_f16 v1, v1, v4
	v_bfi_b32 v4, s2, v9, v1
	v_bfi_b32 v1, s2, v1, v9
	v_pk_mul_f16 v4, v4, 0.5 op_sel_hi:[1,0]
	v_pk_mul_f16 v1, v1, 0.5 op_sel_hi:[1,0]
	s_waitcnt vmcnt(3)
	v_pk_fma_f16 v9, v13, v4, v1 op_sel:[1,0,0]
	v_pk_mul_f16 v10, v13, v4 op_sel_hi:[0,1]
	v_pk_add_f16 v12, v9, v10 op_sel:[0,1] op_sel_hi:[1,0]
	v_pk_add_f16 v9, v9, v10 op_sel:[0,1] op_sel_hi:[1,0] neg_lo:[0,1] neg_hi:[0,1]
	v_bfi_b32 v9, s2, v12, v9
	ds_write_b32 v36, v9 offset:320
	v_pk_fma_f16 v9, v13, v4, v1 op_sel:[1,0,0] neg_lo:[1,0,0] neg_hi:[1,0,0]
	v_pk_fma_f16 v1, v13, v4, v1 op_sel:[1,0,0] neg_lo:[0,0,1] neg_hi:[0,0,1]
	v_pk_add_f16 v9, v9, v10 op_sel:[0,1] op_sel_hi:[1,0] neg_lo:[0,1] neg_hi:[0,1]
	v_pk_add_f16 v1, v1, v10 op_sel:[0,1] op_sel_hi:[1,0] neg_lo:[0,1] neg_hi:[0,1]
	v_bfi_b32 v1, s2, v9, v1
	ds_write_b32 v11, v1 offset:1600
	ds_read_b32 v1, v36 offset:384
	ds_read_b32 v4, v11 offset:1536
	s_waitcnt lgkmcnt(0)
	v_pk_add_f16 v9, v1, v4 neg_lo:[0,1] neg_hi:[0,1]
	v_pk_add_f16 v1, v1, v4
	v_bfi_b32 v4, s2, v9, v1
	v_bfi_b32 v1, s2, v1, v9
	global_load_dword v9, v[7:8], off offset:576
	v_pk_mul_f16 v4, v4, 0.5 op_sel_hi:[1,0]
	v_pk_mul_f16 v1, v1, 0.5 op_sel_hi:[1,0]
	s_waitcnt vmcnt(3)
	v_pk_fma_f16 v10, v14, v4, v1 op_sel:[1,0,0]
	v_pk_mul_f16 v12, v14, v4 op_sel_hi:[0,1]
	v_pk_add_f16 v13, v10, v12 op_sel:[0,1] op_sel_hi:[1,0]
	v_pk_add_f16 v10, v10, v12 op_sel:[0,1] op_sel_hi:[1,0] neg_lo:[0,1] neg_hi:[0,1]
	v_bfi_b32 v10, s2, v13, v10
	ds_write_b32 v36, v10 offset:384
	v_pk_fma_f16 v10, v14, v4, v1 op_sel:[1,0,0] neg_lo:[1,0,0] neg_hi:[1,0,0]
	v_pk_fma_f16 v1, v14, v4, v1 op_sel:[1,0,0] neg_lo:[0,0,1] neg_hi:[0,0,1]
	v_pk_add_f16 v10, v10, v12 op_sel:[0,1] op_sel_hi:[1,0] neg_lo:[0,1] neg_hi:[0,1]
	v_pk_add_f16 v1, v1, v12 op_sel:[0,1] op_sel_hi:[1,0] neg_lo:[0,1] neg_hi:[0,1]
	v_bfi_b32 v1, s2, v10, v1
	ds_write_b32 v11, v1 offset:1536
	ds_read_b32 v1, v36 offset:448
	ds_read_b32 v4, v11 offset:1472
	global_load_dword v12, v[7:8], off offset:640
	s_waitcnt lgkmcnt(0)
	v_pk_add_f16 v10, v1, v4 neg_lo:[0,1] neg_hi:[0,1]
	v_pk_add_f16 v1, v1, v4
	v_bfi_b32 v4, s2, v10, v1
	v_bfi_b32 v1, s2, v1, v10
	v_pk_mul_f16 v4, v4, 0.5 op_sel_hi:[1,0]
	v_pk_mul_f16 v1, v1, 0.5 op_sel_hi:[1,0]
	s_waitcnt vmcnt(3)
	v_pk_fma_f16 v10, v17, v4, v1 op_sel:[1,0,0]
	v_pk_mul_f16 v13, v17, v4 op_sel_hi:[0,1]
	v_pk_add_f16 v14, v10, v13 op_sel:[0,1] op_sel_hi:[1,0]
	v_pk_add_f16 v10, v10, v13 op_sel:[0,1] op_sel_hi:[1,0] neg_lo:[0,1] neg_hi:[0,1]
	v_bfi_b32 v10, s2, v14, v10
	ds_write_b32 v36, v10 offset:448
	v_pk_fma_f16 v10, v17, v4, v1 op_sel:[1,0,0] neg_lo:[1,0,0] neg_hi:[1,0,0]
	v_pk_fma_f16 v1, v17, v4, v1 op_sel:[1,0,0] neg_lo:[0,0,1] neg_hi:[0,0,1]
	v_pk_add_f16 v10, v10, v13 op_sel:[0,1] op_sel_hi:[1,0] neg_lo:[0,1] neg_hi:[0,1]
	v_pk_add_f16 v1, v1, v13 op_sel:[0,1] op_sel_hi:[1,0] neg_lo:[0,1] neg_hi:[0,1]
	v_bfi_b32 v1, s2, v10, v1
	ds_write_b32 v11, v1 offset:1472
	ds_read_b32 v1, v36 offset:512
	ds_read_b32 v4, v11 offset:1408
	s_waitcnt lgkmcnt(0)
	v_pk_add_f16 v10, v1, v4 neg_lo:[0,1] neg_hi:[0,1]
	v_pk_add_f16 v1, v1, v4
	global_load_dword v4, v[7:8], off offset:704
	v_bfi_b32 v13, s2, v10, v1
	v_bfi_b32 v1, s2, v1, v10
	v_pk_mul_f16 v10, v13, 0.5 op_sel_hi:[1,0]
	v_pk_mul_f16 v1, v1, 0.5 op_sel_hi:[1,0]
	s_waitcnt vmcnt(3)
	v_pk_fma_f16 v13, v18, v10, v1 op_sel:[1,0,0]
	v_pk_mul_f16 v14, v18, v10 op_sel_hi:[0,1]
	v_pk_add_f16 v15, v13, v14 op_sel:[0,1] op_sel_hi:[1,0]
	v_pk_add_f16 v13, v13, v14 op_sel:[0,1] op_sel_hi:[1,0] neg_lo:[0,1] neg_hi:[0,1]
	v_bfi_b32 v13, s2, v15, v13
	ds_write_b32 v36, v13 offset:512
	v_pk_fma_f16 v13, v18, v10, v1 op_sel:[1,0,0] neg_lo:[1,0,0] neg_hi:[1,0,0]
	v_pk_fma_f16 v1, v18, v10, v1 op_sel:[1,0,0] neg_lo:[0,0,1] neg_hi:[0,0,1]
	v_pk_add_f16 v13, v13, v14 op_sel:[0,1] op_sel_hi:[1,0] neg_lo:[0,1] neg_hi:[0,1]
	v_pk_add_f16 v1, v1, v14 op_sel:[0,1] op_sel_hi:[1,0] neg_lo:[0,1] neg_hi:[0,1]
	v_bfi_b32 v1, s2, v13, v1
	ds_write_b32 v11, v1 offset:1408
	ds_read_b32 v1, v36 offset:576
	ds_read_b32 v10, v11 offset:1344
	global_load_dword v14, v[7:8], off offset:768
	s_waitcnt lgkmcnt(0)
	v_pk_add_f16 v13, v1, v10 neg_lo:[0,1] neg_hi:[0,1]
	v_pk_add_f16 v1, v1, v10
	v_bfi_b32 v10, s2, v13, v1
	v_bfi_b32 v1, s2, v1, v13
	global_load_dword v13, v[7:8], off offset:832
	global_load_dword v15, v[7:8], off offset:896
	v_pk_mul_f16 v10, v10, 0.5 op_sel_hi:[1,0]
	v_pk_mul_f16 v1, v1, 0.5 op_sel_hi:[1,0]
	s_waitcnt vmcnt(5)
	v_pk_fma_f16 v7, v9, v10, v1 op_sel:[1,0,0]
	v_pk_mul_f16 v8, v9, v10 op_sel_hi:[0,1]
	v_pk_add_f16 v16, v7, v8 op_sel:[0,1] op_sel_hi:[1,0]
	v_pk_add_f16 v7, v7, v8 op_sel:[0,1] op_sel_hi:[1,0] neg_lo:[0,1] neg_hi:[0,1]
	v_bfi_b32 v7, s2, v16, v7
	ds_write_b32 v36, v7 offset:576
	v_pk_fma_f16 v7, v9, v10, v1 op_sel:[1,0,0] neg_lo:[1,0,0] neg_hi:[1,0,0]
	v_pk_fma_f16 v1, v9, v10, v1 op_sel:[1,0,0] neg_lo:[0,0,1] neg_hi:[0,0,1]
	v_pk_add_f16 v7, v7, v8 op_sel:[0,1] op_sel_hi:[1,0] neg_lo:[0,1] neg_hi:[0,1]
	v_pk_add_f16 v1, v1, v8 op_sel:[0,1] op_sel_hi:[1,0] neg_lo:[0,1] neg_hi:[0,1]
	v_bfi_b32 v1, s2, v7, v1
	ds_write_b32 v11, v1 offset:1344
	ds_read_b32 v1, v36 offset:640
	ds_read_b32 v7, v11 offset:1280
	s_waitcnt lgkmcnt(0)
	v_pk_add_f16 v8, v1, v7 neg_lo:[0,1] neg_hi:[0,1]
	v_pk_add_f16 v1, v1, v7
	v_bfi_b32 v7, s2, v8, v1
	v_bfi_b32 v1, s2, v1, v8
	v_pk_mul_f16 v7, v7, 0.5 op_sel_hi:[1,0]
	v_pk_mul_f16 v1, v1, 0.5 op_sel_hi:[1,0]
	s_waitcnt vmcnt(4)
	v_pk_fma_f16 v8, v12, v7, v1 op_sel:[1,0,0]
	v_pk_mul_f16 v9, v12, v7 op_sel_hi:[0,1]
	v_pk_add_f16 v10, v8, v9 op_sel:[0,1] op_sel_hi:[1,0]
	v_pk_add_f16 v8, v8, v9 op_sel:[0,1] op_sel_hi:[1,0] neg_lo:[0,1] neg_hi:[0,1]
	v_bfi_b32 v8, s2, v10, v8
	ds_write_b32 v36, v8 offset:640
	v_pk_fma_f16 v8, v12, v7, v1 op_sel:[1,0,0] neg_lo:[1,0,0] neg_hi:[1,0,0]
	v_pk_fma_f16 v1, v12, v7, v1 op_sel:[1,0,0] neg_lo:[0,0,1] neg_hi:[0,0,1]
	v_pk_add_f16 v8, v8, v9 op_sel:[0,1] op_sel_hi:[1,0] neg_lo:[0,1] neg_hi:[0,1]
	v_pk_add_f16 v1, v1, v9 op_sel:[0,1] op_sel_hi:[1,0] neg_lo:[0,1] neg_hi:[0,1]
	v_bfi_b32 v1, s2, v8, v1
	ds_write_b32 v11, v1 offset:1280
	ds_read_b32 v1, v36 offset:704
	ds_read_b32 v7, v11 offset:1216
	s_waitcnt lgkmcnt(0)
	v_pk_add_f16 v8, v1, v7 neg_lo:[0,1] neg_hi:[0,1]
	v_pk_add_f16 v1, v1, v7
	v_bfi_b32 v7, s2, v8, v1
	v_bfi_b32 v1, s2, v1, v8
	;; [unrolled: 22-line block ×5, first 2 shown]
	v_pk_mul_f16 v4, v4, 0.5 op_sel_hi:[1,0]
	v_pk_mul_f16 v1, v1, 0.5 op_sel_hi:[1,0]
	s_waitcnt vmcnt(0)
	v_pk_fma_f16 v7, v15, v4, v1 op_sel:[1,0,0]
	v_pk_mul_f16 v8, v15, v4 op_sel_hi:[0,1]
	v_pk_add_f16 v9, v7, v8 op_sel:[0,1] op_sel_hi:[1,0]
	v_pk_add_f16 v7, v7, v8 op_sel:[0,1] op_sel_hi:[1,0] neg_lo:[0,1] neg_hi:[0,1]
	v_bfi_b32 v7, s2, v9, v7
	ds_write_b32 v36, v7 offset:896
	v_pk_fma_f16 v7, v15, v4, v1 op_sel:[1,0,0] neg_lo:[1,0,0] neg_hi:[1,0,0]
	v_pk_fma_f16 v1, v15, v4, v1 op_sel:[1,0,0] neg_lo:[0,0,1] neg_hi:[0,0,1]
	v_pk_add_f16 v7, v7, v8 op_sel:[0,1] op_sel_hi:[1,0] neg_lo:[0,1] neg_hi:[0,1]
	v_pk_add_f16 v1, v1, v8 op_sel:[0,1] op_sel_hi:[1,0] neg_lo:[0,1] neg_hi:[0,1]
	v_bfi_b32 v1, s2, v7, v1
	ds_write_b32 v11, v1 offset:1024
	s_waitcnt lgkmcnt(0)
	; wave barrier
	s_waitcnt lgkmcnt(0)
	s_and_saveexec_b64 s[0:1], vcc
	s_cbranch_execz .LBB0_24
; %bb.22:
	ds_read2_b32 v[7:8], v36 offset1:16
	v_mov_b32_e32 v4, s13
	v_add_co_u32_e32 v1, vcc, s12, v2
	v_addc_co_u32_e32 v2, vcc, v4, v3, vcc
	ds_read2_b32 v[3:4], v36 offset0:32 offset1:48
	v_add_co_u32_e32 v5, vcc, v1, v5
	v_addc_co_u32_e32 v6, vcc, v2, v6, vcc
	s_waitcnt lgkmcnt(1)
	global_store_dword v[5:6], v7, off
	ds_read2_b32 v[9:10], v36 offset0:64 offset1:80
	global_store_dword v[5:6], v8, off offset:64
	s_waitcnt lgkmcnt(1)
	global_store_dword v[5:6], v3, off offset:128
	ds_read2_b32 v[7:8], v36 offset0:96 offset1:112
	global_store_dword v[5:6], v4, off offset:192
	s_waitcnt lgkmcnt(1)
	global_store_dword v[5:6], v9, off offset:256
	;; [unrolled: 4-line block ×5, first 2 shown]
	global_store_dword v[5:6], v10, off offset:704
	ds_read2_b32 v[3:4], v36 offset0:224 offset1:240
	v_add_u32_e32 v11, 0x400, v36
	ds_read2_b32 v[9:10], v11 offset1:16
	s_waitcnt lgkmcnt(2)
	global_store_dword v[5:6], v7, off offset:768
	global_store_dword v[5:6], v8, off offset:832
	s_waitcnt lgkmcnt(1)
	global_store_dword v[5:6], v3, off offset:896
	ds_read2_b32 v[7:8], v11 offset0:32 offset1:48
	global_store_dword v[5:6], v4, off offset:960
	s_waitcnt lgkmcnt(1)
	global_store_dword v[5:6], v9, off offset:1024
	ds_read2_b32 v[3:4], v11 offset0:64 offset1:80
	;; [unrolled: 4-line block ×3, first 2 shown]
	global_store_dword v[5:6], v8, off offset:1216
	s_waitcnt lgkmcnt(1)
	global_store_dword v[5:6], v3, off offset:1280
	global_store_dword v[5:6], v4, off offset:1344
	ds_read2_b32 v[3:4], v11 offset0:128 offset1:144
	ds_read2_b32 v[7:8], v11 offset0:160 offset1:176
	v_cmp_eq_u32_e32 vcc, 15, v0
	s_waitcnt lgkmcnt(2)
	global_store_dword v[5:6], v9, off offset:1408
	global_store_dword v[5:6], v10, off offset:1472
	ds_read2_b32 v[9:10], v11 offset0:192 offset1:208
	s_waitcnt lgkmcnt(2)
	global_store_dword v[5:6], v3, off offset:1536
	global_store_dword v[5:6], v4, off offset:1600
	s_waitcnt lgkmcnt(1)
	global_store_dword v[5:6], v7, off offset:1664
	global_store_dword v[5:6], v8, off offset:1728
	;; [unrolled: 3-line block ×3, first 2 shown]
	s_and_b64 exec, exec, vcc
	s_cbranch_execz .LBB0_24
; %bb.23:
	ds_read_b32 v0, v36 offset:1860
	s_waitcnt lgkmcnt(0)
	global_store_dword v[1:2], v0, off offset:1920
.LBB0_24:
	s_endpgm
	.section	.rodata,"a",@progbits
	.p2align	6, 0x0
	.amdhsa_kernel fft_rtc_back_len480_factors_10_8_6_wgs_64_tpt_16_halfLds_half_ip_CI_unitstride_sbrr_R2C_dirReg
		.amdhsa_group_segment_fixed_size 0
		.amdhsa_private_segment_fixed_size 0
		.amdhsa_kernarg_size 88
		.amdhsa_user_sgpr_count 6
		.amdhsa_user_sgpr_private_segment_buffer 1
		.amdhsa_user_sgpr_dispatch_ptr 0
		.amdhsa_user_sgpr_queue_ptr 0
		.amdhsa_user_sgpr_kernarg_segment_ptr 1
		.amdhsa_user_sgpr_dispatch_id 0
		.amdhsa_user_sgpr_flat_scratch_init 0
		.amdhsa_user_sgpr_private_segment_size 0
		.amdhsa_uses_dynamic_stack 0
		.amdhsa_system_sgpr_private_segment_wavefront_offset 0
		.amdhsa_system_sgpr_workgroup_id_x 1
		.amdhsa_system_sgpr_workgroup_id_y 0
		.amdhsa_system_sgpr_workgroup_id_z 0
		.amdhsa_system_sgpr_workgroup_info 0
		.amdhsa_system_vgpr_workitem_id 0
		.amdhsa_next_free_vgpr 108
		.amdhsa_next_free_sgpr 22
		.amdhsa_reserve_vcc 1
		.amdhsa_reserve_flat_scratch 0
		.amdhsa_float_round_mode_32 0
		.amdhsa_float_round_mode_16_64 0
		.amdhsa_float_denorm_mode_32 3
		.amdhsa_float_denorm_mode_16_64 3
		.amdhsa_dx10_clamp 1
		.amdhsa_ieee_mode 1
		.amdhsa_fp16_overflow 0
		.amdhsa_exception_fp_ieee_invalid_op 0
		.amdhsa_exception_fp_denorm_src 0
		.amdhsa_exception_fp_ieee_div_zero 0
		.amdhsa_exception_fp_ieee_overflow 0
		.amdhsa_exception_fp_ieee_underflow 0
		.amdhsa_exception_fp_ieee_inexact 0
		.amdhsa_exception_int_div_zero 0
	.end_amdhsa_kernel
	.text
.Lfunc_end0:
	.size	fft_rtc_back_len480_factors_10_8_6_wgs_64_tpt_16_halfLds_half_ip_CI_unitstride_sbrr_R2C_dirReg, .Lfunc_end0-fft_rtc_back_len480_factors_10_8_6_wgs_64_tpt_16_halfLds_half_ip_CI_unitstride_sbrr_R2C_dirReg
                                        ; -- End function
	.section	.AMDGPU.csdata,"",@progbits
; Kernel info:
; codeLenInByte = 14980
; NumSgprs: 26
; NumVgprs: 108
; ScratchSize: 0
; MemoryBound: 0
; FloatMode: 240
; IeeeMode: 1
; LDSByteSize: 0 bytes/workgroup (compile time only)
; SGPRBlocks: 3
; VGPRBlocks: 26
; NumSGPRsForWavesPerEU: 26
; NumVGPRsForWavesPerEU: 108
; Occupancy: 2
; WaveLimiterHint : 1
; COMPUTE_PGM_RSRC2:SCRATCH_EN: 0
; COMPUTE_PGM_RSRC2:USER_SGPR: 6
; COMPUTE_PGM_RSRC2:TRAP_HANDLER: 0
; COMPUTE_PGM_RSRC2:TGID_X_EN: 1
; COMPUTE_PGM_RSRC2:TGID_Y_EN: 0
; COMPUTE_PGM_RSRC2:TGID_Z_EN: 0
; COMPUTE_PGM_RSRC2:TIDIG_COMP_CNT: 0
	.type	__hip_cuid_bd08330283687f18,@object ; @__hip_cuid_bd08330283687f18
	.section	.bss,"aw",@nobits
	.globl	__hip_cuid_bd08330283687f18
__hip_cuid_bd08330283687f18:
	.byte	0                               ; 0x0
	.size	__hip_cuid_bd08330283687f18, 1

	.ident	"AMD clang version 19.0.0git (https://github.com/RadeonOpenCompute/llvm-project roc-6.4.0 25133 c7fe45cf4b819c5991fe208aaa96edf142730f1d)"
	.section	".note.GNU-stack","",@progbits
	.addrsig
	.addrsig_sym __hip_cuid_bd08330283687f18
	.amdgpu_metadata
---
amdhsa.kernels:
  - .args:
      - .actual_access:  read_only
        .address_space:  global
        .offset:         0
        .size:           8
        .value_kind:     global_buffer
      - .offset:         8
        .size:           8
        .value_kind:     by_value
      - .actual_access:  read_only
        .address_space:  global
        .offset:         16
        .size:           8
        .value_kind:     global_buffer
      - .actual_access:  read_only
        .address_space:  global
        .offset:         24
        .size:           8
        .value_kind:     global_buffer
      - .offset:         32
        .size:           8
        .value_kind:     by_value
      - .actual_access:  read_only
        .address_space:  global
        .offset:         40
        .size:           8
        .value_kind:     global_buffer
      - .actual_access:  read_only
        .address_space:  global
        .offset:         48
        .size:           8
        .value_kind:     global_buffer
      - .offset:         56
        .size:           4
        .value_kind:     by_value
      - .actual_access:  read_only
        .address_space:  global
        .offset:         64
        .size:           8
        .value_kind:     global_buffer
      - .actual_access:  read_only
        .address_space:  global
        .offset:         72
        .size:           8
        .value_kind:     global_buffer
      - .address_space:  global
        .offset:         80
        .size:           8
        .value_kind:     global_buffer
    .group_segment_fixed_size: 0
    .kernarg_segment_align: 8
    .kernarg_segment_size: 88
    .language:       OpenCL C
    .language_version:
      - 2
      - 0
    .max_flat_workgroup_size: 64
    .name:           fft_rtc_back_len480_factors_10_8_6_wgs_64_tpt_16_halfLds_half_ip_CI_unitstride_sbrr_R2C_dirReg
    .private_segment_fixed_size: 0
    .sgpr_count:     26
    .sgpr_spill_count: 0
    .symbol:         fft_rtc_back_len480_factors_10_8_6_wgs_64_tpt_16_halfLds_half_ip_CI_unitstride_sbrr_R2C_dirReg.kd
    .uniform_work_group_size: 1
    .uses_dynamic_stack: false
    .vgpr_count:     108
    .vgpr_spill_count: 0
    .wavefront_size: 64
amdhsa.target:   amdgcn-amd-amdhsa--gfx906
amdhsa.version:
  - 1
  - 2
...

	.end_amdgpu_metadata
